;; amdgpu-corpus repo=ROCm/rocFFT kind=compiled arch=gfx1030 opt=O3
	.text
	.amdgcn_target "amdgcn-amd-amdhsa--gfx1030"
	.amdhsa_code_object_version 6
	.protected	fft_rtc_fwd_len128_factors_2_4_4_4_wgs_128_tpt_4_dim2_sp_ip_CI_sbcc_twdbase8_3step_dirReg ; -- Begin function fft_rtc_fwd_len128_factors_2_4_4_4_wgs_128_tpt_4_dim2_sp_ip_CI_sbcc_twdbase8_3step_dirReg
	.globl	fft_rtc_fwd_len128_factors_2_4_4_4_wgs_128_tpt_4_dim2_sp_ip_CI_sbcc_twdbase8_3step_dirReg
	.p2align	8
	.type	fft_rtc_fwd_len128_factors_2_4_4_4_wgs_128_tpt_4_dim2_sp_ip_CI_sbcc_twdbase8_3step_dirReg,@function
fft_rtc_fwd_len128_factors_2_4_4_4_wgs_128_tpt_4_dim2_sp_ip_CI_sbcc_twdbase8_3step_dirReg: ; @fft_rtc_fwd_len128_factors_2_4_4_4_wgs_128_tpt_4_dim2_sp_ip_CI_sbcc_twdbase8_3step_dirReg
; %bb.0:
	s_load_dwordx4 s[0:3], s[4:5], 0x10
	s_mov_b32 s7, 0
	s_mov_b64 s[16:17], 0
	s_waitcnt lgkmcnt(0)
	s_load_dwordx2 s[12:13], s[0:1], 0x8
	s_load_dwordx2 s[10:11], s[4:5], 0x50
	;; [unrolled: 1-line block ×3, first 2 shown]
	s_waitcnt lgkmcnt(0)
	s_add_u32 s0, s12, -1
	s_addc_u32 s1, s13, -1
	s_lshr_b64 s[0:1], s[0:1], 5
	s_add_u32 s14, s0, 1
	s_addc_u32 s15, s1, 0
	v_cmp_lt_u64_e64 s0, s[6:7], s[14:15]
	s_and_b32 vcc_lo, exec_lo, s0
	s_cbranch_vccnz .LBB0_2
; %bb.1:
	v_cvt_f32_u32_e32 v1, s14
	s_sub_i32 s1, 0, s14
	v_rcp_iflag_f32_e32 v1, v1
	v_mul_f32_e32 v1, 0x4f7ffffe, v1
	v_cvt_u32_f32_e32 v1, v1
	v_readfirstlane_b32 s0, v1
	s_mul_i32 s1, s1, s0
	s_mul_hi_u32 s1, s0, s1
	s_add_i32 s0, s0, s1
	s_mul_hi_u32 s0, s6, s0
	s_mul_i32 s1, s0, s14
	s_add_i32 s7, s0, 1
	s_sub_i32 s1, s6, s1
	s_sub_i32 s16, s1, s14
	s_cmp_ge_u32 s1, s14
	s_cselect_b32 s0, s7, s0
	s_cselect_b32 s1, s16, s1
	s_add_i32 s7, s0, 1
	s_cmp_ge_u32 s1, s14
	s_cselect_b32 s16, s7, s0
.LBB0_2:
	s_load_dwordx4 s[0:3], s[2:3], 0x8
	s_mul_i32 s7, s16, s15
	s_mul_hi_u32 s15, s16, s14
	s_mul_i32 s14, s16, s14
	s_add_i32 s15, s15, s7
	s_sub_u32 s14, s6, s14
	s_subb_u32 s15, 0, s15
	s_load_dwordx2 s[6:7], s[4:5], 0x0
	v_alignbit_b32 v1, s15, s14, 27
	s_lshl_b64 s[14:15], s[14:15], 5
	v_and_b32_e32 v118, 31, v0
	v_mov_b32_e32 v39, s15
	v_lshrrev_b32_e32 v119, 5, v0
	v_readfirstlane_b32 s17, v1
	v_or_b32_e32 v38, s14, v118
	s_waitcnt lgkmcnt(0)
	s_mul_i32 s18, s14, s1
	s_mul_hi_u32 s19, s14, s0
	s_mul_i32 s17, s17, s0
	s_mul_i32 s3, s3, s16
	s_mul_hi_u32 s21, s2, s16
	s_mul_i32 s2, s2, s16
	s_add_i32 s16, s19, s18
	s_mul_i32 s20, s14, s0
	s_add_i32 s21, s21, s3
	s_add_i32 s16, s16, s17
	s_add_u32 s2, s2, s20
	s_addc_u32 s3, s21, s16
	s_add_u32 s16, s14, 32
	s_addc_u32 s17, s15, 0
	v_cmp_gt_u64_e64 s18, s[16:17], s[12:13]
	v_cmp_le_u64_e64 s14, s[16:17], s[12:13]
	s_and_b32 vcc_lo, exec_lo, s18
	s_cbranch_vccz .LBB0_8
; %bb.3:
	s_mov_b32 s15, exec_lo
                                        ; implicit-def: $vgpr120
                                        ; implicit-def: $vgpr122
                                        ; implicit-def: $vgpr123
                                        ; implicit-def: $vgpr124
                                        ; implicit-def: $vgpr125
                                        ; implicit-def: $vgpr35
                                        ; implicit-def: $vgpr76
                                        ; implicit-def: $vgpr121
                                        ; implicit-def: $vgpr36_vgpr37
                                        ; implicit-def: $vgpr40_vgpr41
	v_cmpx_le_u64_e64 s[12:13], v[38:39]
	s_xor_b32 s15, exec_lo, s15
                                        ; implicit-def: $vgpr42_vgpr43
                                        ; implicit-def: $vgpr44_vgpr45
	s_cbranch_execz .LBB0_5
; %bb.4:
	v_mov_b32_e32 v45, 0
	v_or_b32_e32 v120, 4, v119
	v_or_b32_e32 v122, 8, v119
	;; [unrolled: 1-line block ×8, first 2 shown]
	v_mov_b32_e32 v43, v45
	v_or_b32_e32 v36, 64, v119
	v_mov_b32_e32 v37, v45
	v_or_b32_e32 v40, 0x60, v119
	v_mov_b32_e32 v41, v45
.LBB0_5:
	s_or_saveexec_b32 s15, s15
                                        ; implicit-def: $vgpr1
                                        ; implicit-def: $vgpr9
                                        ; implicit-def: $vgpr17
                                        ; implicit-def: $vgpr25
                                        ; implicit-def: $vgpr33
                                        ; implicit-def: $vgpr52
                                        ; implicit-def: $vgpr66
                                        ; implicit-def: $vgpr62
                                        ; implicit-def: $vgpr60
                                        ; implicit-def: $vgpr68
                                        ; implicit-def: $vgpr64
                                        ; implicit-def: $vgpr70
                                        ; implicit-def: $vgpr74
                                        ; implicit-def: $vgpr72
                                        ; implicit-def: $vgpr54
                                        ; implicit-def: $vgpr58
                                        ; implicit-def: $vgpr56
                                        ; implicit-def: $vgpr46
                                        ; implicit-def: $vgpr50
                                        ; implicit-def: $vgpr48
                                        ; implicit-def: $vgpr27
                                        ; implicit-def: $vgpr31
                                        ; implicit-def: $vgpr29
                                        ; implicit-def: $vgpr19
                                        ; implicit-def: $vgpr23
                                        ; implicit-def: $vgpr21
                                        ; implicit-def: $vgpr11
                                        ; implicit-def: $vgpr15
                                        ; implicit-def: $vgpr13
                                        ; implicit-def: $vgpr3
                                        ; implicit-def: $vgpr7
                                        ; implicit-def: $vgpr5
	s_xor_b32 exec_lo, exec_lo, s15
	s_cbranch_execz .LBB0_7
; %bb.6:
	v_or_b32_e32 v36, 64, v119
	v_mad_u64_u32 v[1:2], null, s0, v118, 0
	v_mad_u64_u32 v[3:4], null, s8, v119, 0
	;; [unrolled: 1-line block ×3, first 2 shown]
	v_or_b32_e32 v120, 4, v119
	v_or_b32_e32 v14, 0x44, v119
	s_lshl_b64 s[16:17], s[2:3], 3
	v_or_b32_e32 v122, 8, v119
	v_mad_u64_u32 v[7:8], null, s1, v118, v[2:3]
	v_mov_b32_e32 v2, v6
	v_mad_u64_u32 v[10:11], null, s9, v119, v[4:5]
	v_mad_u64_u32 v[8:9], null, s8, v120, 0
	;; [unrolled: 1-line block ×3, first 2 shown]
	v_mov_b32_e32 v2, v7
	s_add_u32 s16, s10, s16
	v_mov_b32_e32 v4, v10
	s_addc_u32 s17, s11, s17
	v_mov_b32_e32 v7, v9
	v_lshlrev_b64 v[1:2], 3, v[1:2]
	v_mov_b32_e32 v6, v11
	v_mad_u64_u32 v[10:11], null, s8, v14, 0
	v_mad_u64_u32 v[12:13], null, s9, v120, v[7:8]
	v_add_co_u32 v37, vcc_lo, s16, v1
	v_add_co_ci_u32_e32 v41, vcc_lo, s17, v2, vcc_lo
	v_lshlrev_b64 v[1:2], 3, v[3:4]
	v_lshlrev_b64 v[4:5], 3, v[5:6]
	v_mov_b32_e32 v3, v11
	v_mov_b32_e32 v9, v12
	v_mad_u64_u32 v[12:13], null, s8, v122, 0
	v_add_co_u32 v1, vcc_lo, v37, v1
	v_mad_u64_u32 v[6:7], null, s9, v14, v[3:4]
	v_lshlrev_b64 v[7:8], 3, v[8:9]
	v_add_co_ci_u32_e32 v2, vcc_lo, v41, v2, vcc_lo
	v_add_co_u32 v3, vcc_lo, v37, v4
	v_add_co_ci_u32_e32 v4, vcc_lo, v41, v5, vcc_lo
	v_mov_b32_e32 v11, v6
	v_add_co_u32 v14, vcc_lo, v37, v7
	v_mov_b32_e32 v5, v13
	v_or_b32_e32 v22, 0x48, v119
	v_lshlrev_b64 v[6:7], 3, v[10:11]
	v_add_co_ci_u32_e32 v15, vcc_lo, v41, v8, vcc_lo
	v_or_b32_e32 v123, 12, v119
	v_or_b32_e32 v23, 0x4c, v119
	;; [unrolled: 1-line block ×3, first 2 shown]
	v_mad_u64_u32 v[8:9], null, s9, v122, v[5:6]
	v_mad_u64_u32 v[9:10], null, s8, v22, 0
	;; [unrolled: 1-line block ×4, first 2 shown]
	v_mov_b32_e32 v13, v8
	v_add_co_u32 v16, vcc_lo, v37, v6
	v_mov_b32_e32 v5, v10
	v_add_co_ci_u32_e32 v17, vcc_lo, v41, v7, vcc_lo
	v_lshlrev_b64 v[12:13], 3, v[12:13]
	v_or_b32_e32 v30, 0x50, v119
	v_mad_u64_u32 v[10:11], null, s9, v22, v[5:6]
	v_mov_b32_e32 v11, v19
	s_clause 0x3
	global_load_dwordx2 v[5:6], v[1:2], off
	global_load_dwordx2 v[7:8], v[3:4], off
	;; [unrolled: 1-line block ×4, first 2 shown]
	v_mov_b32_e32 v14, v21
	v_or_b32_e32 v125, 20, v119
	v_or_b32_e32 v35, 24, v119
	v_mad_u64_u32 v[15:16], null, s9, v123, v[11:12]
	v_add_co_u32 v11, vcc_lo, v37, v12
	v_add_co_ci_u32_e32 v12, vcc_lo, v41, v13, vcc_lo
	v_lshlrev_b64 v[9:10], 3, v[9:10]
	v_mad_u64_u32 v[24:25], null, s8, v125, 0
	v_mad_u64_u32 v[16:17], null, s9, v23, v[14:15]
	v_mov_b32_e32 v19, v15
	v_mad_u64_u32 v[22:23], null, s8, v124, 0
	v_add_co_u32 v9, vcc_lo, v37, v9
	v_lshlrev_b64 v[13:14], 3, v[18:19]
	v_mad_u64_u32 v[18:19], null, s8, v30, 0
	v_mov_b32_e32 v21, v16
	v_mov_b32_e32 v17, v23
	v_add_co_ci_u32_e32 v10, vcc_lo, v41, v10, vcc_lo
	v_add_co_u32 v26, vcc_lo, v37, v13
	v_lshlrev_b64 v[15:16], 3, v[20:21]
	v_mad_u64_u32 v[20:21], null, s9, v124, v[17:18]
	v_add_co_ci_u32_e32 v27, vcc_lo, v41, v14, vcc_lo
	v_mov_b32_e32 v13, v19
	v_mov_b32_e32 v14, v25
	v_add_co_u32 v28, vcc_lo, v37, v15
	v_mov_b32_e32 v23, v20
	v_add_co_ci_u32_e32 v29, vcc_lo, v41, v16, vcc_lo
	v_mad_u64_u32 v[19:20], null, s9, v30, v[13:14]
	v_or_b32_e32 v30, 0x54, v119
	v_mad_u64_u32 v[20:21], null, s9, v125, v[14:15]
	s_clause 0x3
	global_load_dwordx2 v[13:14], v[11:12], off
	global_load_dwordx2 v[15:16], v[9:10], off
	;; [unrolled: 1-line block ×4, first 2 shown]
	v_lshlrev_b64 v[21:22], 3, v[22:23]
	v_mad_u64_u32 v[26:27], null, s8, v30, 0
	v_lshlrev_b64 v[17:18], 3, v[18:19]
	v_or_b32_e32 v34, 0x58, v119
	v_mov_b32_e32 v25, v20
	v_add_co_u32 v20, vcc_lo, v37, v21
	v_add_co_ci_u32_e32 v21, vcc_lo, v41, v22, vcc_lo
	v_mov_b32_e32 v19, v27
	v_lshlrev_b64 v[22:23], 3, v[24:25]
	v_mad_u64_u32 v[28:29], null, s8, v35, 0
	v_add_co_u32 v17, vcc_lo, v37, v17
	v_mad_u64_u32 v[24:25], null, s9, v30, v[19:20]
	v_mad_u64_u32 v[30:31], null, s8, v34, 0
	v_add_co_ci_u32_e32 v18, vcc_lo, v41, v18, vcc_lo
	v_mov_b32_e32 v19, v29
	v_add_co_u32 v32, vcc_lo, v37, v22
	v_mov_b32_e32 v27, v24
	v_add_co_ci_u32_e32 v33, vcc_lo, v41, v23, vcc_lo
	v_mov_b32_e32 v22, v31
	v_or_b32_e32 v76, 28, v119
	v_lshlrev_b64 v[23:24], 3, v[26:27]
	v_mad_u64_u32 v[25:26], null, s9, v35, v[19:20]
	v_or_b32_e32 v121, 32, v119
	v_or_b32_e32 v40, 0x60, v119
	;; [unrolled: 1-line block ×3, first 2 shown]
	v_mad_u64_u32 v[26:27], null, s9, v34, v[22:23]
	v_or_b32_e32 v34, 0x5c, v119
	v_mov_b32_e32 v29, v25
	v_add_co_u32 v42, vcc_lo, v37, v23
	v_add_co_ci_u32_e32 v43, vcc_lo, v41, v24, vcc_lo
	v_mov_b32_e32 v31, v26
	v_mad_u64_u32 v[25:26], null, s8, v76, 0
	v_lshlrev_b64 v[27:28], 3, v[28:29]
	v_mad_u64_u32 v[44:45], null, s8, v34, 0
	s_clause 0x3
	global_load_dwordx2 v[21:22], v[20:21], off
	global_load_dwordx2 v[23:24], v[17:18], off
	global_load_dwordx2 v[19:20], v[32:33], off
	global_load_dwordx2 v[17:18], v[42:43], off
	v_lshlrev_b64 v[29:30], 3, v[30:31]
	v_mad_u64_u32 v[42:43], null, s8, v121, 0
	v_mad_u64_u32 v[32:33], null, s9, v76, v[26:27]
	v_mov_b32_e32 v31, v45
	v_add_co_u32 v27, vcc_lo, v37, v27
	v_add_co_ci_u32_e32 v28, vcc_lo, v41, v28, vcc_lo
	v_mad_u64_u32 v[46:47], null, s8, v51, 0
	v_mad_u64_u32 v[33:34], null, s9, v34, v[31:32]
	v_add_co_u32 v31, vcc_lo, v37, v29
	v_mov_b32_e32 v29, v43
	v_mov_b32_e32 v26, v32
	v_add_co_ci_u32_e32 v32, vcc_lo, v41, v30, vcc_lo
	v_mov_b32_e32 v45, v33
	v_mad_u64_u32 v[29:30], null, s9, v121, v[29:30]
	v_lshlrev_b64 v[25:26], 3, v[25:26]
	v_or_b32_e32 v53, 0x64, v119
	v_lshlrev_b64 v[33:34], 3, v[44:45]
	v_mad_u64_u32 v[44:45], null, s8, v40, 0
	v_or_b32_e32 v59, 0x68, v119
	v_mov_b32_e32 v43, v29
	v_add_co_u32 v25, vcc_lo, v37, v25
	v_add_co_ci_u32_e32 v26, vcc_lo, v41, v26, vcc_lo
	v_mov_b32_e32 v29, v45
	v_add_co_u32 v33, vcc_lo, v37, v33
	v_add_co_ci_u32_e32 v34, vcc_lo, v41, v34, vcc_lo
	v_mad_u64_u32 v[48:49], null, s9, v40, v[29:30]
	v_mad_u64_u32 v[49:50], null, s8, v53, 0
	s_clause 0x3
	global_load_dwordx2 v[29:30], v[27:28], off
	global_load_dwordx2 v[31:32], v[31:32], off
	;; [unrolled: 1-line block ×4, first 2 shown]
	v_mov_b32_e32 v33, v47
	v_lshlrev_b64 v[42:43], 3, v[42:43]
	v_or_b32_e32 v61, 44, v119
	v_mov_b32_e32 v45, v48
	v_or_b32_e32 v48, 40, v119
	v_mad_u64_u32 v[33:34], null, s9, v51, v[33:34]
	v_mov_b32_e32 v34, v50
	v_lshlrev_b64 v[44:45], 3, v[44:45]
	v_mad_u64_u32 v[51:52], null, s8, v48, 0
	v_add_co_u32 v42, vcc_lo, v37, v42
	v_mad_u64_u32 v[53:54], null, s9, v53, v[34:35]
	v_mov_b32_e32 v47, v33
	v_add_co_ci_u32_e32 v43, vcc_lo, v41, v43, vcc_lo
	v_mov_b32_e32 v33, v52
	v_add_co_u32 v44, vcc_lo, v37, v44
	v_mov_b32_e32 v50, v53
	v_lshlrev_b64 v[46:47], 3, v[46:47]
	v_mad_u64_u32 v[33:34], null, s9, v48, v[33:34]
	v_mad_u64_u32 v[53:54], null, s8, v59, 0
	v_lshlrev_b64 v[48:49], 3, v[49:50]
	v_mad_u64_u32 v[55:56], null, s8, v61, 0
	v_add_co_ci_u32_e32 v45, vcc_lo, v41, v45, vcc_lo
	v_add_co_u32 v46, vcc_lo, v37, v46
	v_add_co_ci_u32_e32 v47, vcc_lo, v41, v47, vcc_lo
	v_mov_b32_e32 v52, v33
	v_add_co_u32 v33, vcc_lo, v37, v48
	v_add_co_ci_u32_e32 v34, vcc_lo, v41, v49, vcc_lo
	v_mov_b32_e32 v48, v54
	v_mov_b32_e32 v49, v56
	v_or_b32_e32 v63, 0x6c, v119
	v_lshlrev_b64 v[57:58], 3, v[51:52]
	v_or_b32_e32 v69, 52, v119
	v_or_b32_e32 v72, 0x78, v119
	v_mad_u64_u32 v[59:60], null, s9, v59, v[48:49]
	v_mad_u64_u32 v[60:61], null, s9, v61, v[49:50]
	;; [unrolled: 1-line block ×3, first 2 shown]
	s_clause 0x3
	global_load_dwordx2 v[48:49], v[42:43], off
	global_load_dwordx2 v[50:51], v[44:45], off
	global_load_dwordx2 v[46:47], v[46:47], off
	global_load_dwordx2 v[33:34], v[33:34], off
	v_add_co_u32 v42, vcc_lo, v37, v57
	v_mov_b32_e32 v54, v59
	v_mov_b32_e32 v56, v60
	v_or_b32_e32 v57, 48, v119
	v_mov_b32_e32 v44, v62
	v_add_co_ci_u32_e32 v43, vcc_lo, v41, v58, vcc_lo
	v_lshlrev_b64 v[52:53], 3, v[53:54]
	v_lshlrev_b64 v[54:55], 3, v[55:56]
	v_mad_u64_u32 v[44:45], null, s9, v63, v[44:45]
	v_mad_u64_u32 v[63:64], null, s8, v57, 0
	v_add_co_u32 v52, vcc_lo, v37, v52
	v_add_co_ci_u32_e32 v53, vcc_lo, v41, v53, vcc_lo
	v_mov_b32_e32 v62, v44
	v_add_co_u32 v44, vcc_lo, v37, v54
	v_add_co_ci_u32_e32 v45, vcc_lo, v41, v55, vcc_lo
	v_lshlrev_b64 v[55:56], 3, v[61:62]
	v_or_b32_e32 v59, 0x70, v119
	v_mov_b32_e32 v54, v64
	v_mad_u64_u32 v[67:68], null, s8, v69, 0
	v_or_b32_e32 v75, 60, v119
	v_mad_u64_u32 v[60:61], null, s8, v59, 0
	v_mad_u64_u32 v[57:58], null, s9, v57, v[54:55]
	v_add_co_u32 v65, vcc_lo, v37, v55
	v_add_co_ci_u32_e32 v66, vcc_lo, v41, v56, vcc_lo
	v_mov_b32_e32 v54, v61
	v_or_b32_e32 v77, 0x7c, v119
	v_mov_b32_e32 v64, v57
	v_mad_u64_u32 v[61:62], null, s9, v59, v[54:55]
	s_clause 0x3
	global_load_dwordx2 v[56:57], v[42:43], off
	global_load_dwordx2 v[58:59], v[52:53], off
	;; [unrolled: 1-line block ×4, first 2 shown]
	v_lshlrev_b64 v[43:44], 3, v[63:64]
	v_mov_b32_e32 v42, v68
	v_or_b32_e32 v65, 0x74, v119
	v_mad_u64_u32 v[62:63], null, s9, v69, v[42:43]
	v_mad_u64_u32 v[63:64], null, s8, v65, 0
	v_or_b32_e32 v69, 56, v119
	v_add_co_u32 v42, vcc_lo, v37, v43
	v_add_co_ci_u32_e32 v43, vcc_lo, v41, v44, vcc_lo
	v_lshlrev_b64 v[44:45], 3, v[60:61]
	v_mov_b32_e32 v68, v62
	v_mad_u64_u32 v[61:62], null, s8, v69, 0
	v_mov_b32_e32 v60, v64
	v_lshlrev_b64 v[67:68], 3, v[67:68]
	v_add_co_u32 v44, vcc_lo, v37, v44
	v_add_co_ci_u32_e32 v45, vcc_lo, v41, v45, vcc_lo
	v_mad_u64_u32 v[64:65], null, s9, v65, v[60:61]
	v_mad_u64_u32 v[65:66], null, s8, v72, 0
	v_mov_b32_e32 v60, v62
	v_add_co_u32 v67, vcc_lo, v37, v67
	v_add_co_ci_u32_e32 v68, vcc_lo, v41, v68, vcc_lo
	v_mad_u64_u32 v[69:70], null, s9, v69, v[60:61]
	v_mov_b32_e32 v60, v66
	v_mad_u64_u32 v[70:71], null, s8, v75, 0
	v_lshlrev_b64 v[63:64], 3, v[63:64]
	v_mad_u64_u32 v[72:73], null, s9, v72, v[60:61]
	v_mad_u64_u32 v[73:74], null, s8, v77, 0
	v_mov_b32_e32 v60, v71
	v_mov_b32_e32 v62, v69
	v_add_co_u32 v63, vcc_lo, v37, v63
	v_mov_b32_e32 v66, v72
	v_mad_u64_u32 v[71:72], null, s9, v75, v[60:61]
	v_lshlrev_b64 v[61:62], 3, v[61:62]
	v_mov_b32_e32 v60, v74
	v_lshlrev_b64 v[65:66], 3, v[65:66]
	v_add_co_ci_u32_e32 v64, vcc_lo, v41, v64, vcc_lo
	v_mad_u64_u32 v[74:75], null, s9, v77, v[60:61]
	v_add_co_u32 v60, vcc_lo, v37, v61
	v_add_co_ci_u32_e32 v61, vcc_lo, v41, v62, vcc_lo
	v_lshlrev_b64 v[69:70], 3, v[70:71]
	v_add_co_u32 v77, vcc_lo, v37, v65
	v_add_co_ci_u32_e32 v78, vcc_lo, v41, v66, vcc_lo
	v_lshlrev_b64 v[65:66], 3, v[73:74]
	v_add_co_u32 v79, vcc_lo, v37, v69
	v_add_co_ci_u32_e32 v80, vcc_lo, v41, v70, vcc_lo
	v_add_co_u32 v81, vcc_lo, v37, v65
	v_add_co_ci_u32_e32 v82, vcc_lo, v41, v66, vcc_lo
	s_clause 0x7
	global_load_dwordx2 v[72:73], v[42:43], off
	global_load_dwordx2 v[74:75], v[44:45], off
	;; [unrolled: 1-line block ×8, first 2 shown]
	v_mov_b32_e32 v45, 0
	v_mov_b32_e32 v37, v45
	;; [unrolled: 1-line block ×4, first 2 shown]
.LBB0_7:
	s_or_b32 exec_lo, exec_lo, s15
	s_cbranch_execz .LBB0_9
	s_branch .LBB0_10
.LBB0_8:
                                        ; implicit-def: $vgpr1
                                        ; implicit-def: $vgpr9
                                        ; implicit-def: $vgpr17
                                        ; implicit-def: $vgpr25
                                        ; implicit-def: $vgpr33
                                        ; implicit-def: $vgpr52
                                        ; implicit-def: $vgpr66
                                        ; implicit-def: $vgpr62
                                        ; implicit-def: $vgpr60
                                        ; implicit-def: $vgpr68
                                        ; implicit-def: $vgpr64
                                        ; implicit-def: $vgpr70
                                        ; implicit-def: $vgpr74
                                        ; implicit-def: $vgpr72
                                        ; implicit-def: $vgpr54
                                        ; implicit-def: $vgpr58
                                        ; implicit-def: $vgpr56
                                        ; implicit-def: $vgpr46
                                        ; implicit-def: $vgpr50
                                        ; implicit-def: $vgpr48
                                        ; implicit-def: $vgpr27
                                        ; implicit-def: $vgpr31
                                        ; implicit-def: $vgpr29
                                        ; implicit-def: $vgpr19
                                        ; implicit-def: $vgpr23
                                        ; implicit-def: $vgpr21
                                        ; implicit-def: $vgpr120
                                        ; implicit-def: $vgpr122
                                        ; implicit-def: $vgpr123
                                        ; implicit-def: $vgpr124
                                        ; implicit-def: $vgpr125
                                        ; implicit-def: $vgpr35
                                        ; implicit-def: $vgpr76
                                        ; implicit-def: $vgpr121
                                        ; implicit-def: $vgpr11
                                        ; implicit-def: $vgpr15
                                        ; implicit-def: $vgpr13
                                        ; implicit-def: $vgpr3
                                        ; implicit-def: $vgpr7
                                        ; implicit-def: $vgpr5
                                        ; implicit-def: $vgpr36_vgpr37
                                        ; implicit-def: $vgpr40_vgpr41
                                        ; implicit-def: $vgpr42_vgpr43
                                        ; implicit-def: $vgpr44_vgpr45
.LBB0_9:
	v_or_b32_e32 v36, 64, v119
	s_waitcnt vmcnt(28)
	v_mad_u64_u32 v[1:2], null, s0, v118, 0
	v_mad_u64_u32 v[3:4], null, s8, v119, 0
	;; [unrolled: 1-line block ×3, first 2 shown]
	v_or_b32_e32 v120, 4, v119
	s_waitcnt vmcnt(27)
	v_or_b32_e32 v14, 0x44, v119
	s_lshl_b64 s[16:17], s[2:3], 3
	v_or_b32_e32 v122, 8, v119
	v_mad_u64_u32 v[7:8], null, s1, v118, v[2:3]
	v_mov_b32_e32 v2, v6
	s_waitcnt vmcnt(24)
	v_mad_u64_u32 v[10:11], null, s9, v119, v[4:5]
	v_mad_u64_u32 v[8:9], null, s8, v120, 0
	;; [unrolled: 1-line block ×3, first 2 shown]
	v_mov_b32_e32 v2, v7
	s_add_u32 s15, s10, s16
	v_mov_b32_e32 v4, v10
	s_addc_u32 s16, s11, s17
	v_mov_b32_e32 v7, v9
	v_lshlrev_b64 v[1:2], 3, v[1:2]
	v_mov_b32_e32 v6, v11
	v_mad_u64_u32 v[10:11], null, s8, v14, 0
	v_mad_u64_u32 v[12:13], null, s9, v120, v[7:8]
	v_add_co_u32 v37, vcc_lo, s15, v1
	v_add_co_ci_u32_e32 v41, vcc_lo, s16, v2, vcc_lo
	v_lshlrev_b64 v[1:2], 3, v[3:4]
	v_lshlrev_b64 v[4:5], 3, v[5:6]
	v_mov_b32_e32 v3, v11
	v_mov_b32_e32 v9, v12
	v_mad_u64_u32 v[12:13], null, s8, v122, 0
	v_add_co_u32 v1, vcc_lo, v37, v1
	v_mad_u64_u32 v[6:7], null, s9, v14, v[3:4]
	v_lshlrev_b64 v[7:8], 3, v[8:9]
	v_add_co_ci_u32_e32 v2, vcc_lo, v41, v2, vcc_lo
	v_add_co_u32 v3, vcc_lo, v37, v4
	v_add_co_ci_u32_e32 v4, vcc_lo, v41, v5, vcc_lo
	v_mov_b32_e32 v11, v6
	v_add_co_u32 v14, vcc_lo, v37, v7
	v_mov_b32_e32 v5, v13
	s_waitcnt vmcnt(23)
	v_or_b32_e32 v22, 0x48, v119
	v_lshlrev_b64 v[6:7], 3, v[10:11]
	v_add_co_ci_u32_e32 v15, vcc_lo, v41, v8, vcc_lo
	v_or_b32_e32 v123, 12, v119
	s_waitcnt vmcnt(22)
	v_or_b32_e32 v23, 0x4c, v119
	v_or_b32_e32 v124, 16, v119
	v_mad_u64_u32 v[8:9], null, s9, v122, v[5:6]
	v_mad_u64_u32 v[9:10], null, s8, v22, 0
	s_waitcnt vmcnt(20)
	v_mad_u64_u32 v[18:19], null, s8, v123, 0
	v_mad_u64_u32 v[20:21], null, s8, v23, 0
	v_mov_b32_e32 v13, v8
	v_add_co_u32 v16, vcc_lo, v37, v6
	v_mov_b32_e32 v5, v10
	v_add_co_ci_u32_e32 v17, vcc_lo, v41, v7, vcc_lo
	v_lshlrev_b64 v[12:13], 3, v[12:13]
	s_waitcnt vmcnt(19)
	v_or_b32_e32 v30, 0x50, v119
	v_mad_u64_u32 v[10:11], null, s9, v22, v[5:6]
	v_mov_b32_e32 v11, v19
	s_clause 0x3
	global_load_dwordx2 v[5:6], v[1:2], off
	global_load_dwordx2 v[7:8], v[3:4], off
	;; [unrolled: 1-line block ×4, first 2 shown]
	v_mov_b32_e32 v14, v21
	v_or_b32_e32 v125, 20, v119
	v_or_b32_e32 v35, 24, v119
	v_mad_u64_u32 v[15:16], null, s9, v123, v[11:12]
	v_add_co_u32 v11, vcc_lo, v37, v12
	v_add_co_ci_u32_e32 v12, vcc_lo, v41, v13, vcc_lo
	v_lshlrev_b64 v[9:10], 3, v[9:10]
	s_waitcnt vmcnt(20)
	v_mad_u64_u32 v[24:25], null, s8, v125, 0
	v_mad_u64_u32 v[16:17], null, s9, v23, v[14:15]
	v_mov_b32_e32 v19, v15
	v_mad_u64_u32 v[22:23], null, s8, v124, 0
	v_add_co_u32 v9, vcc_lo, v37, v9
	v_lshlrev_b64 v[13:14], 3, v[18:19]
	v_mad_u64_u32 v[18:19], null, s8, v30, 0
	v_mov_b32_e32 v21, v16
	v_mov_b32_e32 v17, v23
	v_add_co_ci_u32_e32 v10, vcc_lo, v41, v10, vcc_lo
	v_add_co_u32 v26, vcc_lo, v37, v13
	v_lshlrev_b64 v[15:16], 3, v[20:21]
	v_mad_u64_u32 v[20:21], null, s9, v124, v[17:18]
	v_add_co_ci_u32_e32 v27, vcc_lo, v41, v14, vcc_lo
	v_mov_b32_e32 v13, v19
	v_mov_b32_e32 v14, v25
	v_add_co_u32 v28, vcc_lo, v37, v15
	v_mov_b32_e32 v23, v20
	v_add_co_ci_u32_e32 v29, vcc_lo, v41, v16, vcc_lo
	v_mad_u64_u32 v[19:20], null, s9, v30, v[13:14]
	v_or_b32_e32 v30, 0x54, v119
	v_mad_u64_u32 v[20:21], null, s9, v125, v[14:15]
	s_clause 0x3
	global_load_dwordx2 v[13:14], v[11:12], off
	global_load_dwordx2 v[15:16], v[9:10], off
	global_load_dwordx2 v[11:12], v[26:27], off
	global_load_dwordx2 v[9:10], v[28:29], off
	v_lshlrev_b64 v[21:22], 3, v[22:23]
	v_mad_u64_u32 v[26:27], null, s8, v30, 0
	v_lshlrev_b64 v[17:18], 3, v[18:19]
	s_waitcnt vmcnt(20)
	v_or_b32_e32 v34, 0x58, v119
	v_mov_b32_e32 v25, v20
	v_add_co_u32 v20, vcc_lo, v37, v21
	v_add_co_ci_u32_e32 v21, vcc_lo, v41, v22, vcc_lo
	v_mov_b32_e32 v19, v27
	v_lshlrev_b64 v[22:23], 3, v[24:25]
	v_mad_u64_u32 v[28:29], null, s8, v35, 0
	v_add_co_u32 v17, vcc_lo, v37, v17
	v_mad_u64_u32 v[24:25], null, s9, v30, v[19:20]
	v_mad_u64_u32 v[30:31], null, s8, v34, 0
	v_add_co_ci_u32_e32 v18, vcc_lo, v41, v18, vcc_lo
	v_mov_b32_e32 v19, v29
	v_add_co_u32 v32, vcc_lo, v37, v22
	v_mov_b32_e32 v27, v24
	v_add_co_ci_u32_e32 v33, vcc_lo, v41, v23, vcc_lo
	v_mov_b32_e32 v22, v31
	v_or_b32_e32 v76, 28, v119
	v_lshlrev_b64 v[23:24], 3, v[26:27]
	v_mad_u64_u32 v[25:26], null, s9, v35, v[19:20]
	v_or_b32_e32 v121, 32, v119
	v_or_b32_e32 v40, 0x60, v119
	v_or_b32_e32 v51, 36, v119
	v_mad_u64_u32 v[26:27], null, s9, v34, v[22:23]
	v_or_b32_e32 v34, 0x5c, v119
	v_mov_b32_e32 v29, v25
	v_add_co_u32 v42, vcc_lo, v37, v23
	v_add_co_ci_u32_e32 v43, vcc_lo, v41, v24, vcc_lo
	v_mov_b32_e32 v31, v26
	v_mad_u64_u32 v[25:26], null, s8, v76, 0
	v_lshlrev_b64 v[27:28], 3, v[28:29]
	v_mad_u64_u32 v[44:45], null, s8, v34, 0
	s_clause 0x3
	global_load_dwordx2 v[21:22], v[20:21], off
	global_load_dwordx2 v[23:24], v[17:18], off
	;; [unrolled: 1-line block ×4, first 2 shown]
	v_lshlrev_b64 v[29:30], 3, v[30:31]
	v_mad_u64_u32 v[42:43], null, s8, v121, 0
	v_mad_u64_u32 v[32:33], null, s9, v76, v[26:27]
	v_mov_b32_e32 v31, v45
	v_add_co_u32 v27, vcc_lo, v37, v27
	v_add_co_ci_u32_e32 v28, vcc_lo, v41, v28, vcc_lo
	v_mad_u64_u32 v[46:47], null, s8, v51, 0
	v_mad_u64_u32 v[33:34], null, s9, v34, v[31:32]
	v_add_co_u32 v31, vcc_lo, v37, v29
	v_mov_b32_e32 v29, v43
	v_mov_b32_e32 v26, v32
	v_add_co_ci_u32_e32 v32, vcc_lo, v41, v30, vcc_lo
	v_mov_b32_e32 v45, v33
	v_mad_u64_u32 v[29:30], null, s9, v121, v[29:30]
	v_lshlrev_b64 v[25:26], 3, v[25:26]
	s_waitcnt vmcnt(20)
	v_or_b32_e32 v53, 0x64, v119
	v_lshlrev_b64 v[33:34], 3, v[44:45]
	v_mad_u64_u32 v[44:45], null, s8, v40, 0
	v_or_b32_e32 v59, 0x68, v119
	v_mov_b32_e32 v43, v29
	v_add_co_u32 v25, vcc_lo, v37, v25
	v_add_co_ci_u32_e32 v26, vcc_lo, v41, v26, vcc_lo
	v_mov_b32_e32 v29, v45
	v_add_co_u32 v33, vcc_lo, v37, v33
	v_add_co_ci_u32_e32 v34, vcc_lo, v41, v34, vcc_lo
	v_mad_u64_u32 v[48:49], null, s9, v40, v[29:30]
	v_mad_u64_u32 v[49:50], null, s8, v53, 0
	s_clause 0x3
	global_load_dwordx2 v[29:30], v[27:28], off
	global_load_dwordx2 v[31:32], v[31:32], off
	;; [unrolled: 1-line block ×4, first 2 shown]
	v_mov_b32_e32 v33, v47
	v_lshlrev_b64 v[42:43], 3, v[42:43]
	s_waitcnt vmcnt(17)
	v_or_b32_e32 v61, 44, v119
	v_mov_b32_e32 v45, v48
	v_or_b32_e32 v48, 40, v119
	v_mad_u64_u32 v[33:34], null, s9, v51, v[33:34]
	v_mov_b32_e32 v34, v50
	v_lshlrev_b64 v[44:45], 3, v[44:45]
	v_mad_u64_u32 v[51:52], null, s8, v48, 0
	v_add_co_u32 v42, vcc_lo, v37, v42
	v_mad_u64_u32 v[53:54], null, s9, v53, v[34:35]
	v_mov_b32_e32 v47, v33
	v_add_co_ci_u32_e32 v43, vcc_lo, v41, v43, vcc_lo
	v_mov_b32_e32 v33, v52
	v_add_co_u32 v44, vcc_lo, v37, v44
	v_mov_b32_e32 v50, v53
	v_lshlrev_b64 v[46:47], 3, v[46:47]
	v_mad_u64_u32 v[33:34], null, s9, v48, v[33:34]
	v_mad_u64_u32 v[53:54], null, s8, v59, 0
	v_lshlrev_b64 v[48:49], 3, v[49:50]
	v_mad_u64_u32 v[55:56], null, s8, v61, 0
	v_add_co_ci_u32_e32 v45, vcc_lo, v41, v45, vcc_lo
	v_add_co_u32 v46, vcc_lo, v37, v46
	v_add_co_ci_u32_e32 v47, vcc_lo, v41, v47, vcc_lo
	v_mov_b32_e32 v52, v33
	v_add_co_u32 v33, vcc_lo, v37, v48
	v_add_co_ci_u32_e32 v34, vcc_lo, v41, v49, vcc_lo
	v_mov_b32_e32 v48, v54
	v_mov_b32_e32 v49, v56
	s_waitcnt vmcnt(16)
	v_or_b32_e32 v63, 0x6c, v119
	v_lshlrev_b64 v[57:58], 3, v[51:52]
	v_or_b32_e32 v69, 52, v119
	v_or_b32_e32 v72, 0x78, v119
	v_mad_u64_u32 v[59:60], null, s9, v59, v[48:49]
	v_mad_u64_u32 v[60:61], null, s9, v61, v[49:50]
	;; [unrolled: 1-line block ×3, first 2 shown]
	s_clause 0x3
	global_load_dwordx2 v[48:49], v[42:43], off
	global_load_dwordx2 v[50:51], v[44:45], off
	;; [unrolled: 1-line block ×4, first 2 shown]
	v_add_co_u32 v42, vcc_lo, v37, v57
	v_mov_b32_e32 v54, v59
	v_mov_b32_e32 v56, v60
	v_or_b32_e32 v57, 48, v119
	v_mov_b32_e32 v44, v62
	v_add_co_ci_u32_e32 v43, vcc_lo, v41, v58, vcc_lo
	v_lshlrev_b64 v[52:53], 3, v[53:54]
	v_lshlrev_b64 v[54:55], 3, v[55:56]
	v_mad_u64_u32 v[44:45], null, s9, v63, v[44:45]
	v_mad_u64_u32 v[63:64], null, s8, v57, 0
	v_add_co_u32 v52, vcc_lo, v37, v52
	v_add_co_ci_u32_e32 v53, vcc_lo, v41, v53, vcc_lo
	v_mov_b32_e32 v62, v44
	v_add_co_u32 v44, vcc_lo, v37, v54
	v_add_co_ci_u32_e32 v45, vcc_lo, v41, v55, vcc_lo
	v_lshlrev_b64 v[55:56], 3, v[61:62]
	v_or_b32_e32 v59, 0x70, v119
	v_mov_b32_e32 v54, v64
	v_mad_u64_u32 v[67:68], null, s8, v69, 0
	v_or_b32_e32 v75, 60, v119
	v_mad_u64_u32 v[60:61], null, s8, v59, 0
	v_mad_u64_u32 v[57:58], null, s9, v57, v[54:55]
	v_add_co_u32 v65, vcc_lo, v37, v55
	v_add_co_ci_u32_e32 v66, vcc_lo, v41, v56, vcc_lo
	v_mov_b32_e32 v54, v61
	v_or_b32_e32 v77, 0x7c, v119
	v_mov_b32_e32 v64, v57
	v_mad_u64_u32 v[61:62], null, s9, v59, v[54:55]
	s_clause 0x3
	global_load_dwordx2 v[56:57], v[42:43], off
	global_load_dwordx2 v[58:59], v[52:53], off
	;; [unrolled: 1-line block ×4, first 2 shown]
	v_lshlrev_b64 v[43:44], 3, v[63:64]
	v_mov_b32_e32 v42, v68
	v_or_b32_e32 v65, 0x74, v119
	v_mad_u64_u32 v[62:63], null, s9, v69, v[42:43]
	v_mad_u64_u32 v[63:64], null, s8, v65, 0
	v_or_b32_e32 v69, 56, v119
	v_add_co_u32 v42, vcc_lo, v37, v43
	v_add_co_ci_u32_e32 v43, vcc_lo, v41, v44, vcc_lo
	v_lshlrev_b64 v[44:45], 3, v[60:61]
	v_mov_b32_e32 v68, v62
	v_mad_u64_u32 v[61:62], null, s8, v69, 0
	v_mov_b32_e32 v60, v64
	v_lshlrev_b64 v[67:68], 3, v[67:68]
	v_add_co_u32 v44, vcc_lo, v37, v44
	v_add_co_ci_u32_e32 v45, vcc_lo, v41, v45, vcc_lo
	v_mad_u64_u32 v[64:65], null, s9, v65, v[60:61]
	v_mad_u64_u32 v[65:66], null, s8, v72, 0
	v_mov_b32_e32 v60, v62
	v_add_co_u32 v67, vcc_lo, v37, v67
	v_add_co_ci_u32_e32 v68, vcc_lo, v41, v68, vcc_lo
	v_mad_u64_u32 v[69:70], null, s9, v69, v[60:61]
	v_mov_b32_e32 v60, v66
	v_mad_u64_u32 v[70:71], null, s8, v75, 0
	v_lshlrev_b64 v[63:64], 3, v[63:64]
	v_mad_u64_u32 v[72:73], null, s9, v72, v[60:61]
	v_mad_u64_u32 v[73:74], null, s8, v77, 0
	v_mov_b32_e32 v60, v71
	v_mov_b32_e32 v62, v69
	v_add_co_u32 v63, vcc_lo, v37, v63
	v_mov_b32_e32 v66, v72
	v_mad_u64_u32 v[71:72], null, s9, v75, v[60:61]
	v_lshlrev_b64 v[61:62], 3, v[61:62]
	v_mov_b32_e32 v60, v74
	v_lshlrev_b64 v[65:66], 3, v[65:66]
	v_add_co_ci_u32_e32 v64, vcc_lo, v41, v64, vcc_lo
	v_mad_u64_u32 v[74:75], null, s9, v77, v[60:61]
	v_add_co_u32 v60, vcc_lo, v37, v61
	v_add_co_ci_u32_e32 v61, vcc_lo, v41, v62, vcc_lo
	v_lshlrev_b64 v[69:70], 3, v[70:71]
	v_add_co_u32 v77, vcc_lo, v37, v65
	v_add_co_ci_u32_e32 v78, vcc_lo, v41, v66, vcc_lo
	v_lshlrev_b64 v[65:66], 3, v[73:74]
	v_add_co_u32 v79, vcc_lo, v37, v69
	v_add_co_ci_u32_e32 v80, vcc_lo, v41, v70, vcc_lo
	v_add_co_u32 v81, vcc_lo, v37, v65
	v_add_co_ci_u32_e32 v82, vcc_lo, v41, v66, vcc_lo
	s_clause 0x7
	global_load_dwordx2 v[72:73], v[42:43], off
	global_load_dwordx2 v[74:75], v[44:45], off
	;; [unrolled: 1-line block ×8, first 2 shown]
	v_mov_b32_e32 v45, 0
	v_mov_b32_e32 v37, v45
	;; [unrolled: 1-line block ×4, first 2 shown]
.LBB0_10:
	s_waitcnt vmcnt(28)
	v_sub_f32_e32 v77, v3, v1
	v_sub_f32_e32 v78, v4, v2
	;; [unrolled: 1-line block ×4, first 2 shown]
	v_lshlrev_b32_e32 v1, 3, v118
	v_fma_f32 v2, v3, 2.0, -v77
	v_fma_f32 v3, v4, 2.0, -v78
	v_lshlrev_b32_e32 v4, 9, v119
	v_lshlrev_b32_e32 v42, 9, v120
	v_fma_f32 v5, v5, 2.0, -v7
	v_fma_f32 v6, v6, 2.0, -v8
	s_waitcnt vmcnt(26)
	v_sub_f32_e32 v15, v13, v15
	v_sub_f32_e32 v16, v14, v16
	s_waitcnt vmcnt(24)
	v_sub_f32_e32 v9, v11, v9
	v_sub_f32_e32 v10, v12, v10
	v_add3_u32 v4, 0, v4, v1
	v_lshlrev_b32_e32 v44, 9, v122
	v_add3_u32 v42, 0, v42, v1
	v_lshlrev_b32_e32 v79, 9, v123
	v_fma_f32 v13, v13, 2.0, -v15
	s_waitcnt vmcnt(22)
	v_sub_f32_e32 v23, v21, v23
	v_fma_f32 v14, v14, 2.0, -v16
	v_fma_f32 v11, v11, 2.0, -v9
	v_fma_f32 v12, v12, 2.0, -v10
	v_sub_f32_e32 v24, v22, v24
	ds_write2_b64 v4, v[5:6], v[7:8] offset1:32
	v_add3_u32 v5, 0, v44, v1
	ds_write2_b64 v42, v[2:3], v[77:78] offset1:32
	v_add3_u32 v2, 0, v79, v1
	v_lshlrev_b32_e32 v3, 9, v124
	v_lshlrev_b32_e32 v6, 9, v125
	s_waitcnt vmcnt(20)
	v_sub_f32_e32 v17, v19, v17
	v_sub_f32_e32 v18, v20, v18
	v_fma_f32 v21, v21, 2.0, -v23
	s_waitcnt vmcnt(18)
	v_sub_f32_e32 v31, v29, v31
	v_fma_f32 v22, v22, 2.0, -v24
	v_sub_f32_e32 v32, v30, v32
	s_waitcnt vmcnt(16)
	v_sub_f32_e32 v25, v27, v25
	v_sub_f32_e32 v26, v28, v26
	ds_write2_b64 v5, v[13:14], v[15:16] offset1:32
	v_lshlrev_b32_e32 v5, 9, v35
	ds_write2_b64 v2, v[11:12], v[9:10] offset1:32
	v_add3_u32 v2, 0, v3, v1
	v_add3_u32 v3, 0, v6, v1
	v_lshlrev_b32_e32 v6, 9, v76
	v_fma_f32 v19, v19, 2.0, -v17
	v_fma_f32 v20, v20, 2.0, -v18
	;; [unrolled: 1-line block ×4, first 2 shown]
	s_waitcnt vmcnt(14)
	v_sub_f32_e32 v50, v48, v50
	v_sub_f32_e32 v51, v49, v51
	v_fma_f32 v27, v27, 2.0, -v25
	v_fma_f32 v28, v28, 2.0, -v26
	s_waitcnt vmcnt(8)
	v_sub_f32_e32 v52, v54, v52
	v_sub_f32_e32 v53, v55, v53
	v_add3_u32 v5, 0, v5, v1
	v_lshlrev_b32_e32 v7, 9, v121
	ds_write2_b64 v2, v[21:22], v[23:24] offset1:32
	ds_write2_b64 v3, v[19:20], v[17:18] offset1:32
	v_add3_u32 v2, 0, v6, v1
	v_bfe_u32 v0, v0, 5, 1
	v_sub_f32_e32 v33, v46, v33
	v_sub_f32_e32 v34, v47, v34
	;; [unrolled: 1-line block ×4, first 2 shown]
	v_fma_f32 v48, v48, 2.0, -v50
	v_fma_f32 v49, v49, 2.0, -v51
	v_fma_f32 v54, v54, 2.0, -v52
	s_waitcnt vmcnt(6)
	v_sub_f32_e32 v74, v72, v74
	v_fma_f32 v55, v55, 2.0, -v53
	v_sub_f32_e32 v75, v73, v75
	s_waitcnt vmcnt(0)
	v_sub_f32_e32 v62, v60, v62
	v_sub_f32_e32 v63, v61, v63
	ds_write2_b64 v5, v[29:30], v[31:32] offset1:32
	v_add3_u32 v3, 0, v7, v1
	ds_write2_b64 v2, v[27:28], v[25:26] offset1:32
	v_add_nc_u32_e32 v2, 0x5800, v4
	v_mul_u32_u24_e32 v0, 3, v0
	v_fma_f32 v46, v46, 2.0, -v33
	v_fma_f32 v47, v47, 2.0, -v34
	v_sub_f32_e32 v66, v70, v66
	v_sub_f32_e32 v67, v71, v67
	v_add_nc_u32_e32 v5, 0x4800, v4
	v_fma_f32 v56, v56, 2.0, -v58
	v_fma_f32 v57, v57, 2.0, -v59
	v_sub_f32_e32 v68, v64, v68
	v_sub_f32_e32 v69, v65, v69
	v_add_nc_u32_e32 v6, 0x5000, v4
	v_fma_f32 v72, v72, 2.0, -v74
	v_fma_f32 v73, v73, 2.0, -v75
	;; [unrolled: 1-line block ×4, first 2 shown]
	ds_write2_b64 v3, v[48:49], v[50:51] offset1:32
	ds_write2_b64 v5, v[46:47], v[33:34] offset1:32
	;; [unrolled: 1-line block ×4, first 2 shown]
	v_add_nc_u32_e32 v2, 0x6000, v4
	v_add_nc_u32_e32 v3, 0x6800, v4
	;; [unrolled: 1-line block ×4, first 2 shown]
	v_lshlrev_b32_e32 v0, 3, v0
	v_fma_f32 v70, v70, 2.0, -v66
	v_fma_f32 v71, v71, 2.0, -v67
	;; [unrolled: 1-line block ×4, first 2 shown]
	ds_write2_b64 v2, v[72:73], v[74:75] offset1:32
	ds_write2_b64 v3, v[70:71], v[66:67] offset1:32
	;; [unrolled: 1-line block ×4, first 2 shown]
	s_waitcnt lgkmcnt(0)
	s_barrier
	buffer_gl0_inv
	s_clause 0x1
	global_load_dwordx4 v[2:5], v0, s[6:7]
	global_load_dwordx2 v[66:67], v0, s[6:7] offset:16
	v_lshlrev_b32_e32 v6, 8, v121
	v_lshlrev_b32_e32 v0, 8, v119
	;; [unrolled: 1-line block ×9, first 2 shown]
	v_add3_u32 v139, 0, v6, v1
	v_add3_u32 v137, 0, v0, v1
	;; [unrolled: 1-line block ×9, first 2 shown]
	ds_read_b64 v[68:69], v139
	ds_read2st64_b64 v[6:9], v137 offset0:32 offset1:34
	ds_read2st64_b64 v[10:13], v137 offset0:48 offset1:50
	ds_read2st64_b64 v[14:17], v137 offset1:18
	ds_read2st64_b64 v[18:21], v137 offset0:20 offset1:22
	ds_read2st64_b64 v[22:25], v137 offset0:36 offset1:38
	;; [unrolled: 1-line block ×3, first 2 shown]
	ds_read_b64 v[70:71], v138
	ds_read_b64 v[72:73], v133
	;; [unrolled: 1-line block ×3, first 2 shown]
	ds_read2st64_b64 v[30:33], v137 offset0:24 offset1:26
	ds_read2st64_b64 v[46:49], v137 offset0:40 offset1:42
	;; [unrolled: 1-line block ×6, first 2 shown]
	ds_read_b64 v[77:78], v127
	ds_read_b64 v[79:80], v129
	ds_read_b64 v[81:82], v130
	ds_read_b64 v[83:84], v132
	s_waitcnt vmcnt(0) lgkmcnt(0)
	s_barrier
	buffer_gl0_inv
	v_cmp_gt_u64_e32 vcc_lo, s[12:13], v[38:39]
	s_or_b32 s12, s14, vcc_lo
	v_mul_f32_e32 v0, v69, v3
	v_mul_f32_e32 v42, v7, v5
	;; [unrolled: 1-line block ×48, first 2 shown]
	v_fma_f32 v6, v6, v4, -v42
	v_fmac_f32_e32 v44, v7, v4
	v_fma_f32 v7, v8, v4, -v86
	v_fma_f32 v8, v10, v66, -v85
	;; [unrolled: 1-line block ×3, first 2 shown]
	v_fmac_f32_e32 v87, v9, v4
	v_fmac_f32_e32 v88, v11, v66
	v_fma_f32 v9, v12, v66, -v90
	v_fmac_f32_e32 v91, v13, v66
	v_fma_f32 v10, v18, v2, -v92
	;; [unrolled: 2-line block ×6, first 2 shown]
	v_fma_f32 v19, v28, v66, -v102
	v_fma_f32 v21, v32, v2, -v106
	v_fma_f32 v22, v46, v4, -v108
	v_fma_f32 v23, v48, v4, -v110
	v_fma_f32 v25, v52, v66, -v114
	v_fmac_f32_e32 v128, v57, v2
	v_fmac_f32_e32 v5, v61, v4
	;; [unrolled: 1-line block ×4, first 2 shown]
	v_fma_f32 v16, v16, v2, -v89
	v_fmac_f32_e32 v140, v17, v2
	v_sub_f32_e32 v17, v14, v6
	v_sub_f32_e32 v6, v0, v8
	v_fmac_f32_e32 v101, v27, v66
	v_fmac_f32_e32 v103, v29, v66
	v_fma_f32 v20, v30, v2, -v104
	v_fmac_f32_e32 v105, v31, v2
	v_fmac_f32_e32 v107, v33, v2
	;; [unrolled: 1-line block ×5, first 2 shown]
	v_fma_f32 v26, v54, v2, -v116
	v_fmac_f32_e32 v117, v55, v2
	v_fma_f32 v27, v56, v2, -v126
	v_fma_f32 v29, v60, v4, -v136
	v_sub_f32_e32 v30, v15, v44
	v_sub_f32_e32 v2, v34, v88
	;; [unrolled: 1-line block ×16, first 2 shown]
	v_fma_f32 v52, v14, 2.0, -v17
	v_fma_f32 v0, v0, 2.0, -v6
	v_sub_f32_e32 v22, v105, v113
	v_sub_f32_e32 v87, v83, v29
	v_fma_f32 v25, v16, 2.0, -v7
	v_add_f32_e32 v5, v32, v7
	v_fma_f32 v56, v72, 2.0, -v33
	v_fma_f32 v29, v10, 2.0, -v9
	v_add_f32_e32 v7, v42, v9
	v_add_f32_e32 v9, v46, v13
	v_fma_f32 v61, v77, 2.0, -v47
	v_fma_f32 v67, v79, 2.0, -v49
	;; [unrolled: 1-line block ×4, first 2 shown]
	v_sub_f32_e32 v14, v52, v0
	v_fma_f32 v0, v128, 2.0, -v90
	v_fmac_f32_e32 v115, v53, v66
	v_fma_f32 v28, v58, v4, -v131
	v_fmac_f32_e32 v135, v59, v4
	v_fma_f32 v3, v62, v66, -v3
	v_fma_f32 v4, v64, v66, -v142
	v_sub_f32_e32 v8, v140, v91
	v_sub_f32_e32 v18, v95, v103
	v_fma_f32 v53, v15, 2.0, -v30
	v_fma_f32 v15, v34, 2.0, -v2
	;; [unrolled: 1-line block ×5, first 2 shown]
	v_sub_f32_e32 v10, v47, v22
	v_sub_f32_e32 v22, v56, v29
	v_fma_f32 v29, v46, 2.0, -v9
	v_sub_f32_e32 v46, v67, v69
	v_sub_f32_e32 v69, v77, v0
	v_lshl_or_b32 v0, v119, 2, v119
	v_sub_f32_e32 v85, v81, v28
	v_sub_f32_e32 v86, v82, v135
	;; [unrolled: 1-line block ×4, first 2 shown]
	v_fma_f32 v28, v140, 2.0, -v8
	v_sub_f32_e32 v4, v31, v8
	v_fma_f32 v58, v74, 2.0, -v44
	v_fma_f32 v54, v11, 2.0, -v13
	;; [unrolled: 1-line block ×3, first 2 shown]
	v_sub_f32_e32 v8, v44, v18
	v_sub_f32_e32 v18, v34, v25
	v_lshlrev_b32_e32 v136, 2, v120
	v_lshlrev_b32_e32 v135, 2, v122
	v_and_b32_e32 v0, 9, v0
	v_fma_f32 v24, v50, v66, -v112
	v_sub_f32_e32 v2, v17, v2
	v_add_f32_e32 v3, v30, v6
	v_fma_f32 v57, v73, 2.0, -v42
	v_fma_f32 v73, v26, 2.0, -v65
	v_sub_f32_e32 v15, v53, v15
	v_fma_f32 v25, v42, 2.0, -v7
	v_sub_f32_e32 v26, v58, v54
	v_fma_f32 v54, v34, 2.0, -v18
	v_or_b32_e32 v34, v136, v119
	v_or_b32_e32 v42, v135, v119
	v_lshlrev_b32_e32 v0, 8, v0
	v_sub_f32_e32 v12, v93, v101
	v_sub_f32_e32 v48, v78, v109
	;; [unrolled: 1-line block ×3, first 2 shown]
	v_fma_f32 v55, v71, 2.0, -v32
	v_fma_f32 v16, v17, 2.0, -v2
	;; [unrolled: 1-line block ×5, first 2 shown]
	v_and_b32_e32 v34, 0xf9, v34
	v_and_b32_e32 v42, 0xf9, v42
	v_add3_u32 v0, 0, v0, v1
	v_lshlrev_b32_e32 v131, 2, v123
	v_sub_f32_e32 v50, v80, v111
	v_fma_f32 v51, v93, 2.0, -v12
	v_fmac_f32_e32 v141, v63, v66
	v_fma_f32 v63, v20, 2.0, -v19
	v_add_f32_e32 v11, v48, v19
	v_sub_f32_e32 v19, v55, v28
	v_lshlrev_b32_e32 v34, 8, v34
	v_lshlrev_b32_e32 v42, 8, v42
	ds_write2st64_b64 v0, v[52:53], v[16:17] offset1:1
	v_or_b32_e32 v16, v131, v119
	v_sub_f32_e32 v24, v107, v115
	v_sub_f32_e32 v6, v33, v12
	v_add_f32_e32 v13, v50, v23
	v_sub_f32_e32 v23, v57, v51
	v_fma_f32 v20, v31, 2.0, -v4
	v_fma_f32 v21, v32, 2.0, -v5
	;; [unrolled: 1-line block ×3, first 2 shown]
	v_add3_u32 v34, 0, v34, v1
	ds_write2st64_b64 v0, v[14:15], v[2:3] offset0:2 offset1:3
	v_add3_u32 v0, 0, v42, v1
	v_lshlrev_b32_e32 v128, 2, v124
	v_and_b32_e32 v2, 0xf9, v16
	v_lshlrev_b32_e32 v126, 2, v125
	v_fma_f32 v70, v107, 2.0, -v24
	v_sub_f32_e32 v12, v49, v24
	v_fma_f32 v24, v33, 2.0, -v6
	v_fma_f32 v56, v56, 2.0, -v22
	;; [unrolled: 1-line block ×3, first 2 shown]
	v_sub_f32_e32 v66, v117, v141
	v_fma_f32 v62, v78, 2.0, -v48
	v_fma_f32 v68, v80, 2.0, -v50
	;; [unrolled: 1-line block ×3, first 2 shown]
	v_sub_f32_e32 v27, v59, v60
	v_fma_f32 v28, v44, 2.0, -v8
	ds_write2st64_b64 v34, v[54:55], v[20:21] offset1:1
	ds_write2st64_b64 v34, v[18:19], v[4:5] offset0:2 offset1:3
	ds_write2st64_b64 v0, v[56:57], v[24:25] offset1:1
	v_or_b32_e32 v3, v128, v119
	v_lshlrev_b32_e32 v2, 8, v2
	ds_write2st64_b64 v0, v[22:23], v[6:7] offset0:2 offset1:3
	v_lshlrev_b32_e32 v44, 2, v35
	v_or_b32_e32 v0, v126, v119
	v_lshlrev_b32_e32 v42, 2, v76
	v_fma_f32 v72, v82, 2.0, -v86
	v_fma_f32 v74, v117, 2.0, -v66
	;; [unrolled: 1-line block ×4, first 2 shown]
	v_sub_f32_e32 v47, v68, v70
	v_fma_f32 v58, v58, 2.0, -v26
	v_fma_f32 v59, v59, 2.0, -v27
	v_and_b32_e32 v3, 0xf9, v3
	v_add3_u32 v2, 0, v2, v1
	v_or_b32_e32 v4, v44, v119
	v_and_b32_e32 v0, 0xf9, v0
	v_or_b32_e32 v5, v42, v119
	v_fma_f32 v71, v81, 2.0, -v85
	v_sub_f32_e32 v30, v61, v63
	v_sub_f32_e32 v31, v62, v64
	;; [unrolled: 1-line block ×3, first 2 shown]
	v_fma_f32 v63, v68, 2.0, -v47
	v_sub_f32_e32 v68, v75, v78
	v_lshlrev_b32_e32 v3, 8, v3
	ds_write2st64_b64 v2, v[58:59], v[28:29] offset1:1
	v_and_b32_e32 v4, 0xf9, v4
	v_lshlrev_b32_e32 v0, 8, v0
	ds_write2st64_b64 v2, v[26:27], v[8:9] offset0:2 offset1:3
	v_and_b32_e32 v2, 0xf9, v5
	v_fma_f32 v33, v48, 2.0, -v11
	v_fma_f32 v48, v49, 2.0, -v12
	;; [unrolled: 1-line block ×3, first 2 shown]
	v_sub_f32_e32 v50, v71, v73
	v_fma_f32 v60, v61, 2.0, -v30
	v_fma_f32 v61, v62, 2.0, -v31
	;; [unrolled: 1-line block ×3, first 2 shown]
	v_sub_f32_e32 v66, v85, v66
	v_add_f32_e32 v67, v86, v65
	v_fma_f32 v65, v72, 2.0, -v51
	v_fma_f32 v72, v75, 2.0, -v68
	v_sub_f32_e32 v74, v87, v90
	v_add_f32_e32 v75, v88, v89
	v_add3_u32 v3, 0, v3, v1
	v_lshlrev_b32_e32 v4, 8, v4
	v_add3_u32 v0, 0, v0, v1
	v_lshlrev_b32_e32 v2, 8, v2
	v_fma_f32 v64, v71, 2.0, -v50
	v_fma_f32 v70, v85, 2.0, -v66
	;; [unrolled: 1-line block ×6, first 2 shown]
	ds_write2st64_b64 v3, v[60:61], v[32:33] offset1:1
	ds_write2st64_b64 v3, v[30:31], v[10:11] offset0:2 offset1:3
	v_add3_u32 v3, 0, v4, v1
	ds_write2st64_b64 v0, v[62:63], v[48:49] offset1:1
	ds_write2st64_b64 v0, v[46:47], v[12:13] offset0:2 offset1:3
	v_add3_u32 v0, 0, v2, v1
	v_mul_u32_u24_e32 v2, 3, v119
	v_and_b32_e32 v23, 7, v123
	ds_write2st64_b64 v3, v[64:65], v[70:71] offset1:1
	ds_write2st64_b64 v3, v[50:51], v[66:67] offset0:2 offset1:3
	ds_write2st64_b64 v0, v[72:73], v[77:78] offset1:1
	ds_write2st64_b64 v0, v[68:69], v[74:75] offset0:2 offset1:3
	v_lshlrev_b32_e32 v146, 3, v2
	v_and_b32_e32 v0, 7, v125
	v_and_b32_e32 v2, 7, v76
	;; [unrolled: 1-line block ×3, first 2 shown]
	v_mul_u32_u24_e32 v3, 3, v23
	s_waitcnt lgkmcnt(0)
	v_mul_u32_u24_e32 v11, 3, v0
	v_mul_u32_u24_e32 v15, 3, v2
	;; [unrolled: 1-line block ×3, first 2 shown]
	v_lshlrev_b32_e32 v19, 3, v3
	s_barrier
	v_lshlrev_b32_e32 v20, 3, v11
	v_lshlrev_b32_e32 v25, 3, v15
	;; [unrolled: 1-line block ×3, first 2 shown]
	buffer_gl0_inv
	s_clause 0x9
	global_load_dwordx4 v[3:6], v146, s[6:7] offset:48
	global_load_dwordx4 v[7:10], v19, s[6:7] offset:48
	;; [unrolled: 1-line block ×4, first 2 shown]
	global_load_dwordx2 v[74:75], v21, s[6:7] offset:64
	global_load_dwordx2 v[81:82], v146, s[6:7] offset:64
	;; [unrolled: 1-line block ×4, first 2 shown]
	global_load_dwordx4 v[19:22], v21, s[6:7] offset:48
	global_load_dwordx2 v[87:88], v25, s[6:7] offset:64
	v_and_or_b32 v24, 0xe0, v136, v24
	v_and_or_b32 v25, 0xe0, v135, v119
	v_add_nc_u32_e32 v77, 0x6000, v137
	v_and_or_b32 v109, 0xe0, v131, v23
	v_and_or_b32 v0, 0xe0, v126, v0
	v_lshlrev_b32_e32 v24, 8, v24
	v_lshlrev_b32_e32 v110, 8, v25
	v_and_or_b32 v2, 0xe0, v42, v2
	v_lshlrev_b32_e32 v0, 8, v0
	v_add3_u32 v111, 0, v24, v1
	ds_read2st64_b64 v[23:26], v137 offset0:20 offset1:22
	ds_read2st64_b64 v[27:30], v137 offset0:36 offset1:38
	;; [unrolled: 1-line block ×8, first 2 shown]
	ds_read_b64 v[89:90], v138
	ds_read_b64 v[91:92], v133
	;; [unrolled: 1-line block ×3, first 2 shown]
	ds_read_b64 v[95:96], v137 offset:31744
	ds_read2st64_b64 v[66:69], v137 offset0:54 offset1:56
	ds_read2st64_b64 v[70:73], v137 offset0:58 offset1:60
	ds_read2_b32 v[97:98], v77 offset1:1
	ds_read2st64_b64 v[77:80], v137 offset1:18
	ds_read_b64 v[99:100], v134
	ds_read_b64 v[101:102], v127
	;; [unrolled: 1-line block ×5, first 2 shown]
	s_waitcnt vmcnt(0) lgkmcnt(0)
	s_barrier
	buffer_gl0_inv
	v_lshlrev_b32_e32 v2, 8, v2
	v_add3_u32 v0, 0, v0, v1
	v_mul_f32_e32 v155, v63, v75
	v_mul_f32_e32 v112, v24, v4
	;; [unrolled: 1-line block ×46, first 2 shown]
	v_fma_f32 v23, v23, v3, -v112
	v_fmac_f32_e32 v113, v24, v3
	v_fma_f32 v24, v25, v7, -v114
	v_fmac_f32_e32 v115, v26, v7
	v_fma_f32 v7, v29, v9, -v8
	v_fma_f32 v8, v27, v5, -v116
	v_fmac_f32_e32 v117, v28, v5
	v_fma_f32 v25, v31, v3, -v140
	v_fmac_f32_e32 v141, v32, v3
	;; [unrolled: 2-line block ×7, first 2 shown]
	v_fmac_f32_e32 v10, v30, v9
	v_fma_f32 v26, v33, v11, -v142
	v_fmac_f32_e32 v143, v34, v11
	v_fma_f32 v9, v52, v13, -v12
	;; [unrolled: 2-line block ×10, first 2 shown]
	v_fmac_f32_e32 v88, v96, v87
	v_sub_f32_e32 v34, v77, v3
	v_sub_f32_e32 v46, v78, v6
	;; [unrolled: 1-line block ×4, first 2 shown]
	v_mul_f32_e32 v161, v71, v86
	v_fma_f32 v16, v64, v81, -v156
	v_fmac_f32_e32 v157, v65, v81
	v_fma_f32 v31, v72, v81, -v162
	v_fmac_f32_e32 v163, v73, v81
	v_sub_f32_e32 v32, v89, v33
	v_sub_f32_e32 v33, v90, v22
	;; [unrolled: 1-line block ×13, first 2 shown]
	v_fma_f32 v60, v77, 2.0, -v34
	v_fma_f32 v61, v78, 2.0, -v46
	v_fma_f32 v58, v15, 2.0, -v6
	v_fma_f32 v59, v4, 2.0, -v3
	v_fma_f32 v29, v68, v81, -v159
	v_fma_f32 v30, v70, v85, -v161
	v_sub_f32_e32 v47, v91, v8
	v_sub_f32_e32 v8, v23, v16
	;; [unrolled: 1-line block ×5, first 2 shown]
	v_add_f32_e32 v4, v46, v6
	v_fma_f32 v62, v89, 2.0, -v32
	v_fma_f32 v63, v90, 2.0, -v33
	;; [unrolled: 1-line block ×6, first 2 shown]
	v_sub_f32_e32 v9, v49, v17
	v_fma_f32 v92, v151, 2.0, -v19
	v_sub_f32_e32 v17, v72, v19
	v_sub_f32_e32 v19, v60, v58
	;; [unrolled: 1-line block ×3, first 2 shown]
	v_mul_f32_e32 v86, v70, v86
	v_fmac_f32_e32 v160, v69, v81
	v_sub_f32_e32 v29, v25, v29
	v_sub_f32_e32 v54, v104, v14
	;; [unrolled: 1-line block ×5, first 2 shown]
	v_add_f32_e32 v6, v33, v22
	v_fma_f32 v66, v91, 2.0, -v47
	v_fma_f32 v68, v23, 2.0, -v8
	;; [unrolled: 1-line block ×6, first 2 shown]
	v_sub_f32_e32 v23, v62, v64
	v_sub_f32_e32 v24, v63, v65
	ds_write2st64_b64 v137, v[19:20], v[3:4] offset0:8 offset1:12
	v_fma_f32 v3, v60, 2.0, -v19
	v_fma_f32 v4, v61, 2.0, -v20
	v_fmac_f32_e32 v86, v71, v85
	v_sub_f32_e32 v51, v101, v11
	v_sub_f32_e32 v52, v102, v145
	;; [unrolled: 1-line block ×5, first 2 shown]
	v_add_f32_e32 v8, v48, v8
	v_fma_f32 v70, v99, 2.0, -v49
	v_fma_f32 v71, v100, 2.0, -v50
	;; [unrolled: 1-line block ×8, first 2 shown]
	v_sub_f32_e32 v27, v66, v68
	v_sub_f32_e32 v28, v67, v69
	v_fma_f32 v19, v62, 2.0, -v23
	v_fma_f32 v20, v63, 2.0, -v24
	ds_write2st64_b64 v137, v[3:4], v[21:22] offset1:4
	v_add3_u32 v21, 0, v110, v1
	v_sub_f32_e32 v30, v143, v86
	v_sub_f32_e32 v56, v105, v13
	;; [unrolled: 1-line block ×3, first 2 shown]
	v_add_f32_e32 v10, v50, v10
	v_fma_f32 v77, v101, 2.0, -v51
	v_fma_f32 v78, v102, 2.0, -v52
	v_fma_f32 v80, v141, 2.0, -v11
	v_add_f32_e32 v12, v52, v29
	v_add_f32_e32 v16, v57, v31
	v_fma_f32 v29, v47, 2.0, -v7
	v_sub_f32_e32 v31, v70, v74
	v_sub_f32_e32 v32, v71, v75
	v_lshlrev_b32_e32 v22, 8, v109
	ds_write2st64_b64 v111, v[19:20], v[25:26] offset1:4
	ds_write2st64_b64 v111, v[23:24], v[5:6] offset0:8 offset1:12
	v_and_or_b32 v5, 0xe0, v128, v119
	ds_write2st64_b64 v21, v[27:28], v[7:8] offset0:8 offset1:12
	v_and_or_b32 v7, 0xe0, v44, v119
	v_sub_f32_e32 v11, v51, v11
	v_fma_f32 v81, v103, 2.0, -v53
	v_fma_f32 v82, v104, 2.0, -v54
	;; [unrolled: 1-line block ×3, first 2 shown]
	v_sub_f32_e32 v13, v53, v30
	v_add_f32_e32 v14, v54, v14
	v_fma_f32 v85, v105, 2.0, -v56
	v_fma_f32 v86, v106, 2.0, -v57
	;; [unrolled: 1-line block ×8, first 2 shown]
	v_sub_f32_e32 v46, v77, v79
	v_sub_f32_e32 v47, v78, v80
	v_fma_f32 v60, v66, 2.0, -v27
	v_fma_f32 v61, v67, 2.0, -v28
	;; [unrolled: 1-line block ×4, first 2 shown]
	v_add3_u32 v6, 0, v22, v1
	v_lshlrev_b32_e32 v5, 8, v5
	v_lshlrev_b32_e32 v7, 8, v7
	v_sub_f32_e32 v15, v56, v55
	v_add_f32_e32 v18, v73, v18
	v_fma_f32 v48, v51, 2.0, -v11
	v_fma_f32 v49, v52, 2.0, -v12
	v_sub_f32_e32 v50, v81, v83
	v_sub_f32_e32 v51, v82, v84
	v_fma_f32 v52, v53, 2.0, -v13
	v_fma_f32 v53, v54, 2.0, -v14
	v_sub_f32_e32 v54, v85, v87
	v_sub_f32_e32 v55, v86, v88
	;; [unrolled: 1-line block ×4, first 2 shown]
	v_fma_f32 v64, v77, 2.0, -v46
	v_fma_f32 v65, v78, 2.0, -v47
	ds_write2st64_b64 v21, v[60:61], v[29:30] offset1:4
	ds_write2st64_b64 v6, v[62:63], v[33:34] offset1:4
	v_add3_u32 v5, 0, v5, v1
	ds_write2st64_b64 v6, v[31:32], v[9:10] offset0:8 offset1:12
	v_add3_u32 v6, 0, v7, v1
	v_fma_f32 v56, v56, 2.0, -v15
	v_fma_f32 v57, v57, 2.0, -v16
	;; [unrolled: 1-line block ×10, first 2 shown]
	v_add3_u32 v1, 0, v2, v1
	ds_write2st64_b64 v5, v[64:65], v[48:49] offset1:4
	ds_write2st64_b64 v5, v[46:47], v[11:12] offset0:8 offset1:12
	ds_write2st64_b64 v0, v[66:67], v[52:53] offset1:4
	ds_write2st64_b64 v0, v[50:51], v[13:14] offset0:8 offset1:12
	;; [unrolled: 2-line block ×4, first 2 shown]
	s_waitcnt lgkmcnt(0)
	s_barrier
	buffer_gl0_inv
	s_and_saveexec_b32 s13, s12
	s_cbranch_execz .LBB0_12
; %bb.11:
	v_and_b32_e32 v143, 31, v123
	v_and_b32_e32 v39, 31, v76
	;; [unrolled: 1-line block ×5, first 2 shown]
	v_mul_u32_u24_e32 v16, 3, v143
	v_and_b32_e32 v142, 31, v124
	v_mul_u32_u24_e32 v0, 3, v39
	v_mul_u32_u24_e32 v1, 3, v140
	;; [unrolled: 1-line block ×3, first 2 shown]
	v_lshlrev_b32_e32 v28, 3, v16
	v_mul_u32_u24_e32 v16, 3, v144
	v_mul_u32_u24_e32 v9, 3, v142
	v_lshlrev_b32_e32 v24, 3, v0
	v_lshlrev_b32_e32 v25, 3, v1
	;; [unrolled: 1-line block ×5, first 2 shown]
	s_clause 0xb
	global_load_dwordx4 v[0:3], v24, s[6:7] offset:240
	global_load_dwordx4 v[4:7], v25, s[6:7] offset:240
	;; [unrolled: 1-line block ×6, first 2 shown]
	global_load_dwordx2 v[54:55], v24, s[6:7] offset:256
	global_load_dwordx2 v[52:53], v25, s[6:7] offset:256
	;; [unrolled: 1-line block ×6, first 2 shown]
	v_or_b32_e32 v24, 0x60, v76
	s_load_dwordx2 s[4:5], s[4:5], 0x8
	v_and_b32_e32 v145, 31, v120
	v_or_b32_e32 v25, 0x60, v35
	v_mul_lo_u32 v170, v38, v39
	v_mul_lo_u32 v169, v38, v24
	v_mov_b32_e32 v147, 3
	v_mul_u32_u24_e32 v26, 3, v145
	v_mul_lo_u32 v171, v38, v25
	v_or_b32_e32 v24, 0x60, v125
	v_mul_lo_u32 v172, v38, v140
	global_load_dwordx2 v[58:59], v146, s[6:7] offset:256
	v_lshlrev_b32_e32 v168, 3, v26
	v_bfe_u32 v29, v169, 8, 8
	v_lshlrev_b32_sdwa v30, v147, v169 dst_sel:DWORD dst_unused:UNUSED_PAD src0_sel:DWORD src1_sel:BYTE_0
	v_bfe_u32 v25, v170, 8, 8
	v_or_b32_e32 v26, 0x60, v124
	global_load_dwordx2 v[60:61], v168, s[6:7] offset:256
	v_lshl_or_b32 v29, v29, 3, 0x800
	v_lshlrev_b32_sdwa v32, v147, v170 dst_sel:DWORD dst_unused:UNUSED_PAD src0_sel:DWORD src1_sel:BYTE_0
	s_waitcnt lgkmcnt(0)
	s_clause 0x1
	global_load_dwordx2 v[66:67], v30, s[4:5]
	global_load_dwordx2 v[68:69], v29, s[4:5]
	v_bfe_u32 v29, v171, 8, 8
	v_lshl_or_b32 v25, v25, 3, 0x800
	v_mul_lo_u32 v175, v38, v24
	v_mul_lo_u32 v178, v38, v141
	v_lshlrev_b32_sdwa v24, v147, v171 dst_sel:DWORD dst_unused:UNUSED_PAD src0_sel:DWORD src1_sel:BYTE_0
	s_clause 0x1
	global_load_dwordx2 v[62:63], v32, s[4:5]
	global_load_dwordx2 v[64:65], v25, s[4:5]
	v_lshl_or_b32 v25, v29, 3, 0x800
	v_mul_lo_u32 v177, v38, v26
	v_bfe_u32 v26, v172, 8, 8
	v_or_b32_e32 v27, 0x60, v123
	s_clause 0x1
	global_load_dwordx2 v[70:71], v24, s[4:5]
	global_load_dwordx2 v[72:73], v25, s[4:5]
	v_lshlrev_b32_sdwa v24, v147, v172 dst_sel:DWORD dst_unused:UNUSED_PAD src0_sel:DWORD src1_sel:BYTE_0
	v_mul_lo_u32 v176, v38, v142
	v_lshl_or_b32 v25, v26, 3, 0x800
	v_bfe_u32 v26, v175, 8, 8
	v_mul_lo_u32 v173, v38, v27
	v_bfe_u32 v27, v178, 8, 8
	v_or_b32_e32 v28, 32, v76
	s_clause 0x1
	global_load_dwordx2 v[74:75], v24, s[4:5]
	global_load_dwordx2 v[76:77], v25, s[4:5]
	v_lshlrev_b32_sdwa v24, v147, v175 dst_sel:DWORD dst_unused:UNUSED_PAD src0_sel:DWORD src1_sel:BYTE_0
	v_lshl_or_b32 v25, v26, 3, 0x800
	v_lshlrev_b32_sdwa v26, v147, v178 dst_sel:DWORD dst_unused:UNUSED_PAD src0_sel:DWORD src1_sel:BYTE_0
	v_bfe_u32 v29, v177, 8, 8
	v_lshl_or_b32 v27, v27, 3, 0x800
	s_clause 0x1
	global_load_dwordx2 v[78:79], v24, s[4:5]
	global_load_dwordx2 v[84:85], v25, s[4:5]
	v_lshlrev_b32_sdwa v24, v147, v177 dst_sel:DWORD dst_unused:UNUSED_PAD src0_sel:DWORD src1_sel:BYTE_0
	s_clause 0x1
	global_load_dwordx2 v[80:81], v26, s[4:5]
	global_load_dwordx2 v[82:83], v27, s[4:5]
	v_lshl_or_b32 v25, v29, 3, 0x800
	v_bfe_u32 v26, v176, 8, 8
	v_or_b32_e32 v31, 32, v35
	v_lshlrev_b32_sdwa v27, v147, v176 dst_sel:DWORD dst_unused:UNUSED_PAD src0_sel:DWORD src1_sel:BYTE_0
	s_clause 0x1
	global_load_dwordx2 v[86:87], v24, s[4:5]
	global_load_dwordx2 v[88:89], v25, s[4:5]
	v_bfe_u32 v25, v173, 8, 8
	v_lshl_or_b32 v24, v26, 3, 0x800
	v_mul_lo_u32 v174, v38, v28
	v_mul_lo_u32 v179, v38, v31
	v_lshlrev_b32_sdwa v26, v147, v173 dst_sel:DWORD dst_unused:UNUSED_PAD src0_sel:DWORD src1_sel:BYTE_0
	s_clause 0x1
	global_load_dwordx2 v[90:91], v27, s[4:5]
	global_load_dwordx2 v[92:93], v24, s[4:5]
	v_lshl_or_b32 v24, v25, 3, 0x800
	v_or_b32_e32 v25, 64, v39
	s_clause 0x1
	global_load_dwordx2 v[94:95], v26, s[4:5]
	global_load_dwordx2 v[96:97], v24, s[4:5]
	v_or_b32_e32 v24, 64, v140
	v_bfe_u32 v28, v174, 8, 8
	v_mul_lo_u32 v184, v38, v25
	v_bfe_u32 v25, v179, 8, 8
	v_lshlrev_b32_sdwa v27, v147, v174 dst_sel:DWORD dst_unused:UNUSED_PAD src0_sel:DWORD src1_sel:BYTE_0
	v_mul_lo_u32 v185, v38, v24
	v_lshlrev_b32_sdwa v24, v147, v179 dst_sel:DWORD dst_unused:UNUSED_PAD src0_sel:DWORD src1_sel:BYTE_0
	v_lshl_or_b32 v28, v28, 3, 0x800
	v_lshl_or_b32 v25, v25, 3, 0x800
	s_clause 0x3
	global_load_dwordx2 v[98:99], v27, s[4:5]
	global_load_dwordx2 v[102:103], v28, s[4:5]
	;; [unrolled: 1-line block ×4, first 2 shown]
	v_or_b32_e32 v24, 64, v141
	v_bfe_u32 v26, v184, 8, 8
	v_bfe_u32 v25, v185, 8, 8
	v_lshlrev_b32_sdwa v27, v147, v184 dst_sel:DWORD dst_unused:UNUSED_PAD src0_sel:DWORD src1_sel:BYTE_0
	v_mul_lo_u32 v193, v38, v143
	v_mul_lo_u32 v186, v38, v24
	v_lshl_or_b32 v26, v26, 3, 0x800
	v_lshlrev_b32_sdwa v24, v147, v185 dst_sel:DWORD dst_unused:UNUSED_PAD src0_sel:DWORD src1_sel:BYTE_0
	v_lshl_or_b32 v25, v25, 3, 0x800
	s_clause 0x3
	global_load_dwordx2 v[104:105], v27, s[4:5]
	global_load_dwordx2 v[112:113], v26, s[4:5]
	;; [unrolled: 1-line block ×4, first 2 shown]
	v_and_or_b32 v44, 0x80, v44, v140
	v_bfe_u32 v24, v186, 8, 8
	v_lshlrev_b32_sdwa v25, v147, v186 dst_sel:DWORD dst_unused:UNUSED_PAD src0_sel:DWORD src1_sel:BYTE_0
	v_bfe_u32 v186, v186, 16, 8
	v_lshl_or_b32 v24, v24, 3, 0x800
	s_clause 0x1
	global_load_dwordx2 v[114:115], v25, s[4:5]
	global_load_dwordx2 v[116:117], v24, s[4:5]
	ds_read2st64_b64 v[24:27], v137 offset0:44 offset1:46
	ds_read2st64_b64 v[148:151], v137 offset0:28 offset1:30
	;; [unrolled: 1-line block ×8, first 2 shown]
	s_waitcnt vmcnt(41) lgkmcnt(6)
	v_mul_f32_e32 v152, v151, v1
	v_mul_f32_e32 v159, v150, v1
	s_waitcnt vmcnt(40)
	v_mul_f32_e32 v1, v25, v7
	v_mul_f32_e32 v155, v148, v5
	;; [unrolled: 1-line block ×3, first 2 shown]
	v_fma_f32 v158, v150, v0, -v152
	v_fmac_f32_e32 v159, v151, v0
	v_mul_f32_e32 v0, v149, v5
	v_mul_f32_e32 v3, v27, v3
	v_fma_f32 v157, v24, v6, -v1
	v_fmac_f32_e32 v155, v149, v4
	s_waitcnt vmcnt(39) lgkmcnt(5)
	v_mul_f32_e32 v152, v164, v15
	v_fma_f32 v154, v148, v4, -v0
	s_waitcnt lgkmcnt(4)
	v_mul_f32_e32 v0, v183, v13
	v_mul_f32_e32 v1, v165, v15
	;; [unrolled: 1-line block ×3, first 2 shown]
	v_or_b32_e32 v4, 32, v125
	v_fmac_f32_e32 v160, v27, v2
	v_fma_f32 v161, v26, v2, -v3
	s_waitcnt vmcnt(38)
	v_mul_f32_e32 v148, v162, v11
	v_mul_f32_e32 v2, v163, v11
	v_fmac_f32_e32 v152, v165, v14
	v_fma_f32 v151, v182, v12, -v0
	v_fma_f32 v153, v164, v14, -v1
	v_fmac_f32_e32 v150, v183, v12
	ds_read2st64_b64 v[11:14], v137 offset0:48 offset1:50
	v_or_b32_e32 v5, 32, v124
	v_mul_lo_u32 v195, v38, v4
	s_waitcnt vmcnt(37) lgkmcnt(1)
	v_mul_f32_e32 v4, v199, v21
	v_mul_f32_e32 v156, v24, v7
	;; [unrolled: 1-line block ×3, first 2 shown]
	v_mul_lo_u32 v194, v38, v5
	v_mul_f32_e32 v5, v190, v23
	v_fma_f32 v164, v198, v20, -v4
	s_waitcnt vmcnt(36)
	v_mul_f32_e32 v4, v188, v19
	v_fmac_f32_e32 v156, v25, v6
	ds_read2st64_b64 v[24:27], v137 offset0:52 offset1:54
	v_mul_f32_e32 v0, v181, v9
	v_mul_f32_e32 v125, v180, v9
	v_or_b32_e32 v9, 64, v143
	v_fmac_f32_e32 v148, v163, v10
	v_fmac_f32_e32 v166, v190, v22
	v_fma_f32 v167, v189, v22, -v5
	v_fma_f32 v163, v187, v18, -v4
	v_bfe_u32 v22, v170, 16, 8
	s_waitcnt vmcnt(35)
	v_mul_f32_e32 v4, v35, v55
	v_bfe_u32 v170, v175, 16, 8
	s_waitcnt vmcnt(34)
	v_mul_f32_e32 v175, v32, v53
	v_mul_lo_u32 v9, v38, v9
	v_fmac_f32_e32 v125, v181, v8
	v_mul_f32_e32 v165, v198, v21
	v_bfe_u32 v21, v174, 16, 8
	v_mul_f32_e32 v174, v34, v55
	v_fma_f32 v181, v34, v54, -v4
	v_mul_f32_e32 v4, v33, v53
	v_fmac_f32_e32 v175, v33, v52
	s_waitcnt vmcnt(32)
	v_mul_f32_e32 v33, v29, v49
	v_mul_f32_e32 v5, v197, v17
	;; [unrolled: 1-line block ×3, first 2 shown]
	v_or_b32_e32 v6, 32, v123
	v_fma_f32 v123, v180, v8, -v0
	v_or_b32_e32 v8, 64, v142
	v_fmac_f32_e32 v165, v199, v20
	v_bfe_u32 v20, v169, 16, 8
	v_bfe_u32 v55, v179, 16, 8
	;; [unrolled: 1-line block ×3, first 2 shown]
	v_fmac_f32_e32 v174, v35, v54
	v_bfe_u32 v35, v177, 16, 8
	v_mul_f32_e32 v177, v28, v49
	v_fma_f32 v179, v28, v48, -v33
	v_bfe_u32 v28, v9, 8, 8
	v_lshlrev_b32_sdwa v54, v147, v9 dst_sel:DWORD dst_unused:UNUSED_PAD src0_sel:DWORD src1_sel:BYTE_0
	v_bfe_u32 v204, v9, 16, 8
	s_waitcnt vmcnt(29) lgkmcnt(1)
	v_mul_f32_e32 v9, v12, v59
	v_fma_f32 v149, v162, v10, -v2
	v_or_b32_e32 v7, 0x60, v122
	global_load_dwordx4 v[0:3], v146, s[6:7] offset:240
	v_bfe_u32 v15, v195, 8, 8
	v_fma_f32 v146, v196, v16, -v5
	v_fmac_f32_e32 v124, v197, v16
	v_bfe_u32 v16, v194, 8, 8
	v_fma_f32 v183, v32, v52, -v4
	v_mul_f32_e32 v4, v31, v51
	v_mul_f32_e32 v180, v30, v51
	v_mul_lo_u32 v192, v38, v6
	v_mul_lo_u32 v8, v38, v8
	v_lshl_or_b32 v189, v169, 3, 0x1000
	v_fma_f32 v169, v58, v11, -v9
	s_waitcnt vmcnt(29)
	v_mul_f32_e32 v9, v14, v61
	v_mul_lo_u32 v191, v38, v7
	v_mul_f32_e32 v162, v187, v19
	v_lshlrev_b32_sdwa v10, v147, v195 dst_sel:DWORD dst_unused:UNUSED_PAD src0_sel:DWORD src1_sel:BYTE_0
	v_lshlrev_b32_sdwa v17, v147, v194 dst_sel:DWORD dst_unused:UNUSED_PAD src0_sel:DWORD src1_sel:BYTE_0
	v_bfe_u32 v23, v171, 16, 8
	v_bfe_u32 v53, v176, 16, 8
	v_fma_f32 v182, v30, v50, -v4
	v_fmac_f32_e32 v180, v31, v50
	global_load_dwordx4 v[4:7], v168, s[6:7] offset:240
	v_lshl_or_b32 v15, v15, 3, 0x800
	v_fmac_f32_e32 v177, v29, v48
	v_lshl_or_b32 v16, v16, 3, 0x800
	v_bfe_u32 v29, v184, 16, 8
	s_waitcnt lgkmcnt(0)
	v_mul_f32_e32 v31, v25, v57
	v_mul_f32_e32 v172, v24, v57
	;; [unrolled: 1-line block ×3, first 2 shown]
	v_bfe_u32 v19, v192, 8, 8
	v_bfe_u32 v34, v178, 16, 8
	v_fma_f32 v171, v13, v60, -v9
	s_waitcnt vmcnt(28)
	v_mul_f32_e32 v9, v67, v69
	v_fmac_f32_e32 v162, v188, v18
	v_lshlrev_b32_sdwa v18, v147, v192 dst_sel:DWORD dst_unused:UNUSED_PAD src0_sel:DWORD src1_sel:BYTE_0
	v_bfe_u32 v32, v173, 16, 8
	v_bfe_u32 v30, v8, 8, 8
	v_lshl_or_b32 v51, v21, 3, 0x1000
	v_lshl_or_b32 v21, v22, 3, 0x1000
	;; [unrolled: 1-line block ×3, first 2 shown]
	v_bfe_u32 v22, v185, 16, 8
	v_mul_f32_e32 v23, v27, v47
	v_mul_f32_e32 v176, v26, v47
	v_lshl_or_b32 v47, v53, 3, 0x1000
	s_clause 0x1
	global_load_dwordx2 v[48:49], v10, s[4:5]
	global_load_dwordx2 v[52:53], v15, s[4:5]
	v_fma_f32 v173, v24, v56, -v31
	v_fmac_f32_e32 v172, v25, v56
	global_load_dwordx2 v[56:57], v17, s[4:5]
	v_fmac_f32_e32 v168, v12, v58
	global_load_dwordx2 v[58:59], v16, s[4:5]
	v_lshl_or_b32 v10, v29, 3, 0x1000
	v_lshl_or_b32 v20, v20, 3, 0x1000
	v_lshlrev_b32_sdwa v50, v147, v8 dst_sel:DWORD dst_unused:UNUSED_PAD src0_sel:DWORD src1_sel:BYTE_0
	v_lshl_or_b32 v19, v19, 3, 0x800
	v_lshl_or_b32 v201, v170, 3, 0x1000
	v_lshl_or_b32 v202, v34, 3, 0x1000
	v_bfe_u32 v8, v8, 16, 8
	v_mul_f32_e32 v170, v13, v61
	s_waitcnt vmcnt(30)
	v_mul_f32_e32 v11, v63, v65
	v_fma_f32 v190, v66, v68, -v9
	s_waitcnt vmcnt(28)
	v_mul_f32_e32 v9, v71, v73
	v_lshl_or_b32 v203, v35, 3, 0x1000
	global_load_dwordx2 v[199:200], v18, s[4:5]
	v_lshl_or_b32 v205, v30, 3, 0x800
	s_clause 0x1
	global_load_dwordx2 v[30:31], v10, s[4:5]
	global_load_dwordx2 v[34:35], v20, s[4:5]
	v_lshl_or_b32 v10, v22, 3, 0x1000
	v_fma_f32 v178, v26, v46, -v23
	v_fmac_f32_e32 v176, v27, v46
	v_lshl_or_b32 v46, v32, 3, 0x1000
	v_fmac_f32_e32 v170, v14, v60
	global_load_dwordx2 v[26:27], v21, s[4:5]
	v_mul_f32_e32 v184, v62, v65
	s_clause 0x2
	global_load_dwordx2 v[60:61], v19, s[4:5]
	global_load_dwordx2 v[22:23], v10, s[4:5]
	;; [unrolled: 1-line block ×3, first 2 shown]
	v_fma_f32 v187, v62, v64, -v11
	s_clause 0x1
	global_load_dwordx2 v[18:19], v189, s[4:5]
	global_load_dwordx2 v[10:11], v202, s[4:5]
	v_lshl_or_b32 v12, v186, 3, 0x1000
	v_fma_f32 v189, v70, v72, -v9
	s_waitcnt vmcnt(35)
	v_mul_f32_e32 v9, v75, v77
	v_lshl_or_b32 v13, v8, 3, 0x1000
	v_lshl_or_b32 v206, v28, 3, 0x800
	v_fmac_f32_e32 v184, v63, v64
	s_clause 0x1
	global_load_dwordx2 v[20:21], v12, s[4:5]
	global_load_dwordx2 v[28:29], v201, s[4:5]
	v_fma_f32 v186, v74, v76, -v9
	s_clause 0x4
	global_load_dwordx2 v[8:9], v47, s[4:5]
	global_load_dwordx2 v[16:17], v13, s[4:5]
	;; [unrolled: 1-line block ×5, first 2 shown]
	v_mul_f32_e32 v77, v74, v77
	s_waitcnt vmcnt(40)
	v_mul_f32_e32 v12, v79, v85
	v_mul_f32_e32 v185, v70, v73
	v_lshl_or_b32 v14, v204, 3, 0x1000
	s_waitcnt vmcnt(38)
	v_mul_f32_e32 v15, v81, v83
	v_fmac_f32_e32 v77, v75, v76
	v_mul_f32_e32 v76, v78, v85
	v_fma_f32 v85, v78, v84, -v12
	s_waitcnt vmcnt(36)
	v_mul_f32_e32 v12, v87, v89
	s_waitcnt vmcnt(34)
	v_mul_f32_e32 v47, v91, v93
	v_mul_f32_e32 v188, v66, v69
	v_fmac_f32_e32 v185, v71, v72
	v_mul_f32_e32 v72, v80, v83
	v_bfe_u32 v198, v193, 8, 8
	v_lshl_or_b32 v55, v55, 3, 0x1000
	v_fmac_f32_e32 v76, v79, v84
	v_fma_f32 v78, v80, v82, -v15
	v_fma_f32 v79, v86, v88, -v12
	s_clause 0x1
	global_load_dwordx2 v[12:13], v14, s[4:5]
	global_load_dwordx2 v[14:15], v46, s[4:5]
	s_waitcnt vmcnt(34)
	v_mul_f32_e32 v46, v95, v97
	v_fma_f32 v75, v90, v92, -v47
	s_waitcnt vmcnt(32)
	v_mul_f32_e32 v47, v99, v103
	v_mul_f32_e32 v74, v86, v89
	s_waitcnt vmcnt(30)
	v_mul_f32_e32 v80, v100, v109
	v_or_b32_e32 v86, 64, v144
	v_lshlrev_b32_sdwa v197, v147, v193 dst_sel:DWORD dst_unused:UNUSED_PAD src0_sel:DWORD src1_sel:BYTE_0
	v_fmac_f32_e32 v188, v67, v68
	v_fmac_f32_e32 v72, v81, v82
	global_load_dwordx2 v[50:51], v51, s[4:5]
	v_mul_f32_e32 v82, v98, v103
	s_clause 0x1
	global_load_dwordx2 v[66:67], v54, s[4:5]
	global_load_dwordx2 v[68:69], v206, s[4:5]
	v_mul_f32_e32 v54, v101, v109
	v_fma_f32 v73, v94, v96, -v46
	v_fma_f32 v84, v98, v102, -v47
	global_load_dwordx2 v[46:47], v55, s[4:5]
	v_lshl_or_b32 v55, v198, 3, 0x800
	v_bfe_u32 v196, v191, 8, 8
	v_fmac_f32_e32 v80, v101, v108
	v_mul_lo_u32 v101, v38, v86
	v_fmac_f32_e32 v82, v99, v102
	v_fma_f32 v81, v100, v108, -v54
	s_clause 0x1
	global_load_dwordx2 v[102:103], v197, s[4:5]
	global_load_dwordx2 v[108:109], v55, s[4:5]
	v_mul_f32_e32 v71, v94, v97
	v_lshlrev_b32_sdwa v83, v147, v191 dst_sel:DWORD dst_unused:UNUSED_PAD src0_sel:DWORD src1_sel:BYTE_0
	s_waitcnt vmcnt(34)
	v_mul_f32_e32 v55, v105, v113
	v_mul_f32_e32 v99, v104, v113
	v_lshl_or_b32 v54, v196, 3, 0x800
	v_fmac_f32_e32 v74, v87, v88
	v_bfe_u32 v86, v195, 16, 8
	s_waitcnt vmcnt(32)
	v_mul_f32_e32 v87, v107, v111
	v_fmac_f32_e32 v71, v95, v96
	v_fma_f32 v100, v104, v112, -v55
	v_fmac_f32_e32 v99, v105, v112
	v_mul_f32_e32 v96, v106, v111
	s_clause 0x1
	global_load_dwordx2 v[104:105], v83, s[4:5]
	global_load_dwordx2 v[111:112], v54, s[4:5]
	v_bfe_u32 v83, v101, 8, 8
	v_lshl_or_b32 v55, v86, 3, 0x1000
	v_fma_f32 v98, v106, v110, -v87
	s_waitcnt vmcnt(32)
	v_mul_f32_e32 v87, v115, v117
	v_lshlrev_b32_sdwa v88, v147, v101 dst_sel:DWORD dst_unused:UNUSED_PAD src0_sel:DWORD src1_sel:BYTE_0
	v_lshl_or_b32 v83, v83, 3, 0x800
	v_fmac_f32_e32 v96, v107, v110
	global_load_dwordx2 v[54:55], v55, s[4:5]
	v_mul_f32_e32 v86, v114, v117
	v_fma_f32 v89, v114, v116, -v87
	s_clause 0x1
	global_load_dwordx2 v[106:107], v88, s[4:5]
	global_load_dwordx2 v[113:114], v83, s[4:5]
	v_mul_f32_e32 v70, v90, v93
	v_bfe_u32 v83, v194, 16, 8
	v_fmac_f32_e32 v86, v115, v116
	v_mul_lo_u32 v195, v38, v121
	v_fmac_f32_e32 v70, v91, v92
	s_waitcnt vmcnt(31)
	v_mul_f32_e32 v87, v49, v53
	v_mul_f32_e32 v92, v48, v53
	v_lshl_or_b32 v53, v83, 3, 0x1000
	v_or_b32_e32 v83, 32, v122
	v_fma_f32 v97, v48, v52, -v87
	s_waitcnt vmcnt(29)
	v_mul_f32_e32 v88, v56, v59
	v_fmac_f32_e32 v92, v49, v52
	v_bfe_u32 v49, v192, 16, 8
	global_load_dwordx2 v[52:53], v53, s[4:5]
	v_fmac_f32_e32 v88, v57, v58
	v_lshl_or_b32 v49, v49, 3, 0x1000
	s_waitcnt vmcnt(25)
	v_mul_f32_e32 v91, v199, v61
	v_fmac_f32_e32 v91, v200, v60
	s_waitcnt vmcnt(14)
	v_mul_f32_e32 v48, v63, v65
	v_mul_f32_e32 v87, v62, v65
	v_mul_lo_u32 v65, v38, v83
	v_fma_f32 v90, v62, v64, -v48
	v_mul_f32_e32 v48, v57, v59
	v_bfe_u32 v62, v193, 16, 8
	v_fmac_f32_e32 v87, v63, v64
	v_mul_lo_u32 v64, v38, v144
	v_lshlrev_b32_sdwa v63, v147, v65 dst_sel:DWORD dst_unused:UNUSED_PAD src0_sel:DWORD src1_sel:BYTE_0
	v_fma_f32 v93, v56, v58, -v48
	v_bfe_u32 v58, v65, 8, 8
	v_lshl_or_b32 v56, v62, 3, 0x1000
	v_mul_f32_e32 v62, v200, v61
	v_bfe_u32 v61, v101, 16, 8
	v_mul_lo_u32 v193, v38, v36
	v_lshl_or_b32 v58, v58, 3, 0x800
	global_load_dwordx2 v[56:57], v56, s[4:5]
	v_fma_f32 v95, v199, v60, -v62
	v_bfe_u32 v62, v191, 16, 8
	v_bfe_u32 v110, v64, 8, 8
	v_mul_lo_u32 v191, v38, v145
	v_lshl_or_b32 v60, v62, 3, 0x1000
	v_bfe_u32 v62, v65, 16, 8
	s_waitcnt vmcnt(10)
	v_mul_f32_e32 v59, v67, v69
	v_mul_f32_e32 v83, v66, v69
	v_lshl_or_b32 v62, v62, 3, 0x1000
	v_fma_f32 v94, v66, v68, -v59
	v_fmac_f32_e32 v83, v67, v68
	global_load_dwordx2 v[66:67], v58, s[4:5]
	v_lshl_or_b32 v58, v61, 3, 0x1000
	global_load_dwordx2 v[48:49], v49, s[4:5]
	s_waitcnt vmcnt(9)
	v_mul_f32_e32 v59, v103, v109
	v_mul_f32_e32 v101, v102, v109
	v_lshlrev_b32_sdwa v109, v147, v64 dst_sel:DWORD dst_unused:UNUSED_PAD src0_sel:DWORD src1_sel:BYTE_0
	v_bfe_u32 v64, v64, 16, 8
	v_fma_f32 v102, v102, v108, -v59
	s_clause 0x2
	global_load_dwordx2 v[58:59], v58, s[4:5]
	global_load_dwordx2 v[60:61], v60, s[4:5]
	;; [unrolled: 1-line block ×3, first 2 shown]
	v_fmac_f32_e32 v101, v103, v108
	v_lshl_or_b32 v108, v110, 3, 0x800
	v_lshl_or_b32 v64, v64, 3, 0x1000
	s_waitcnt vmcnt(10)
	v_mul_f32_e32 v65, v105, v112
	v_mul_f32_e32 v103, v104, v112
	v_fma_f32 v104, v104, v111, -v65
	v_fmac_f32_e32 v103, v105, v111
	s_clause 0x1
	global_load_dwordx2 v[111:112], v108, s[4:5]
	global_load_dwordx2 v[62:63], v62, s[4:5]
	s_waitcnt vmcnt(9)
	v_mul_f32_e32 v65, v107, v114
	v_mul_f32_e32 v105, v106, v114
	v_fma_f32 v106, v106, v113, -v65
	global_load_dwordx2 v[64:65], v64, s[4:5]
	v_fmac_f32_e32 v105, v107, v113
	global_load_dwordx2 v[113:114], v109, s[4:5]
	s_waitcnt vmcnt(4)
	v_mul_f32_e32 v108, v69, v67
	v_mul_f32_e32 v107, v68, v67
	v_or_b32_e32 v67, 64, v145
	v_fma_f32 v109, v68, v66, -v108
	v_fmac_f32_e32 v107, v69, v66
	v_or_b32_e32 v66, 0x60, v120
	v_mul_lo_u32 v117, v38, v67
	v_mul_lo_u32 v66, v38, v66
	v_bfe_u32 v69, v117, 16, 8
	v_bfe_u32 v67, v66, 8, 8
	v_lshl_or_b32 v69, v69, 3, 0x1000
	s_waitcnt vmcnt(0)
	v_mul_f32_e32 v68, v114, v112
	v_mul_f32_e32 v108, v113, v112
	v_lshl_or_b32 v67, v67, 3, 0x800
	v_fma_f32 v110, v113, v111, -v68
	v_bfe_u32 v68, v66, 16, 8
	v_lshlrev_b32_sdwa v66, v147, v66 dst_sel:DWORD dst_unused:UNUSED_PAD src0_sel:DWORD src1_sel:BYTE_0
	v_fmac_f32_e32 v108, v114, v111
	v_lshl_or_b32 v68, v68, 3, 0x1000
	s_clause 0x3
	global_load_dwordx2 v[112:113], v66, s[4:5]
	global_load_dwordx2 v[114:115], v67, s[4:5]
	;; [unrolled: 1-line block ×4, first 2 shown]
	s_waitcnt vmcnt(2)
	v_mul_f32_e32 v111, v113, v115
	v_fma_f32 v111, v112, v114, -v111
	v_mul_f32_e32 v112, v112, v115
	v_fmac_f32_e32 v112, v113, v114
	ds_read_b64 v[113:114], v139
	ds_read_b64 v[138:139], v138
	s_waitcnt lgkmcnt(1)
	v_mul_f32_e32 v115, v1, v114
	v_mul_f32_e32 v199, v1, v113
	v_lshlrev_b32_sdwa v1, v147, v117 dst_sel:DWORD dst_unused:UNUSED_PAD src0_sel:DWORD src1_sel:BYTE_0
	v_fma_f32 v122, v0, v113, -v115
	v_fmac_f32_e32 v199, v0, v114
	ds_read2st64_b64 v[113:116], v137 offset0:32 offset1:34
	s_waitcnt lgkmcnt(0)
	v_mul_f32_e32 v0, v3, v114
	v_mul_f32_e32 v200, v3, v113
	;; [unrolled: 1-line block ×3, first 2 shown]
	v_fma_f32 v201, v2, v113, -v0
	v_mul_f32_e32 v0, v116, v7
	v_fmac_f32_e32 v200, v2, v114
	v_fmac_f32_e32 v202, v116, v6
	v_fma_f32 v203, v115, v6, -v0
	ds_read2st64_b64 v[113:116], v137 offset1:18
	s_waitcnt lgkmcnt(0)
	v_mul_f32_e32 v0, v116, v5
	v_mul_f32_e32 v204, v115, v5
	v_fma_f32 v137, v115, v4, -v0
	v_or_b32_e32 v0, 32, v120
	v_fmac_f32_e32 v204, v116, v4
	v_mul_lo_u32 v6, v38, v0
	v_bfe_u32 v0, v117, 8, 8
	v_lshl_or_b32 v2, v0, 3, 0x800
	v_bfe_u32 v0, v6, 16, 8
	v_lshl_or_b32 v4, v0, 3, 0x1000
	s_clause 0x2
	global_load_dwordx2 v[0:1], v1, s[4:5]
	global_load_dwordx2 v[2:3], v2, s[4:5]
	;; [unrolled: 1-line block ×3, first 2 shown]
	s_waitcnt vmcnt(1)
	v_mul_f32_e32 v7, v1, v3
	v_mul_f32_e32 v120, v0, v3
	v_fma_f32 v117, v0, v2, -v7
	v_bfe_u32 v0, v6, 8, 8
	v_fmac_f32_e32 v120, v1, v2
	v_lshlrev_b32_sdwa v1, v147, v6 dst_sel:DWORD dst_unused:UNUSED_PAD src0_sel:DWORD src1_sel:BYTE_0
	v_lshl_or_b32 v2, v0, 3, 0x800
	v_bfe_u32 v0, v191, 8, 8
	v_lshl_or_b32 v6, v0, 3, 0x800
	v_bfe_u32 v0, v191, 16, 8
	v_lshl_or_b32 v115, v0, 3, 0x1000
	s_clause 0x3
	global_load_dwordx2 v[0:1], v1, s[4:5]
	global_load_dwordx2 v[2:3], v2, s[4:5]
	;; [unrolled: 1-line block ×4, first 2 shown]
	s_waitcnt vmcnt(2)
	v_mul_f32_e32 v192, v1, v3
	v_mul_f32_e32 v206, v0, v3
	v_fma_f32 v205, v0, v2, -v192
	v_lshlrev_b32_sdwa v0, v147, v191 dst_sel:DWORD dst_unused:UNUSED_PAD src0_sel:DWORD src1_sel:BYTE_0
	v_fmac_f32_e32 v206, v1, v2
	global_load_dwordx2 v[0:1], v0, s[4:5]
	s_waitcnt vmcnt(0)
	v_mul_f32_e32 v2, v1, v7
	v_mul_f32_e32 v208, v0, v7
	v_fma_f32 v207, v0, v6, -v2
	v_mul_lo_u32 v0, v38, v40
	v_fmac_f32_e32 v208, v1, v6
	v_mul_lo_u32 v38, v38, v119
	v_bfe_u32 v1, v0, 8, 8
	v_bfe_u32 v2, v0, 16, 8
	v_lshlrev_b32_sdwa v0, v147, v0 dst_sel:DWORD dst_unused:UNUSED_PAD src0_sel:DWORD src1_sel:BYTE_0
	v_lshl_or_b32 v3, v1, 3, 0x800
	v_bfe_u32 v1, v193, 16, 8
	v_lshl_or_b32 v6, v2, 3, 0x1000
	v_lshl_or_b32 v7, v1, 3, 0x1000
	s_clause 0x3
	global_load_dwordx2 v[0:1], v0, s[4:5]
	global_load_dwordx2 v[2:3], v3, s[4:5]
	;; [unrolled: 1-line block ×4, first 2 shown]
	s_waitcnt vmcnt(2)
	v_mul_f32_e32 v194, v1, v3
	v_mul_f32_e32 v210, v0, v3
	v_fma_f32 v209, v0, v2, -v194
	v_bfe_u32 v0, v193, 8, 8
	v_fmac_f32_e32 v210, v1, v2
	v_lshlrev_b32_sdwa v1, v147, v193 dst_sel:DWORD dst_unused:UNUSED_PAD src0_sel:DWORD src1_sel:BYTE_0
	v_lshl_or_b32 v2, v0, 3, 0x800
	v_bfe_u32 v0, v195, 16, 8
	v_lshl_or_b32 v193, v0, 3, 0x1000
	s_clause 0x2
	global_load_dwordx2 v[0:1], v1, s[4:5]
	global_load_dwordx2 v[2:3], v2, s[4:5]
	;; [unrolled: 1-line block ×3, first 2 shown]
	s_waitcnt vmcnt(1)
	v_mul_f32_e32 v196, v1, v3
	v_mul_f32_e32 v212, v0, v3
	v_fma_f32 v211, v0, v2, -v196
	v_bfe_u32 v0, v195, 8, 8
	v_fmac_f32_e32 v212, v1, v2
	v_lshlrev_b32_sdwa v1, v147, v195 dst_sel:DWORD dst_unused:UNUSED_PAD src0_sel:DWORD src1_sel:BYTE_0
	v_lshl_or_b32 v2, v0, 3, 0x800
	v_bfe_u32 v0, v38, 8, 8
	v_lshl_or_b32 v195, v0, 3, 0x800
	v_bfe_u32 v0, v38, 16, 8
	v_lshl_or_b32 v197, v0, 3, 0x1000
	s_clause 0x3
	global_load_dwordx2 v[0:1], v1, s[4:5]
	global_load_dwordx2 v[2:3], v2, s[4:5]
	;; [unrolled: 1-line block ×4, first 2 shown]
	s_waitcnt vmcnt(2)
	v_mul_f32_e32 v213, v1, v3
	v_mul_f32_e32 v214, v0, v3
	;; [unrolled: 1-line block ×4, first 2 shown]
	v_fma_f32 v213, v0, v2, -v213
	v_mul_f32_e32 v0, v188, v35
	v_fmac_f32_e32 v214, v1, v2
	v_mul_f32_e32 v1, v99, v31
	v_mul_f32_e32 v31, v100, v31
	;; [unrolled: 1-line block ×3, first 2 shown]
	v_fma_f32 v215, v34, v190, -v0
	v_mul_f32_e32 v0, v190, v35
	v_mul_f32_e32 v53, v93, v53
	v_fmac_f32_e32 v31, v30, v99
	v_fmac_f32_e32 v63, v62, v107
	v_fmac_f32_e32 v0, v34, v188
	v_fma_f32 v188, v30, v100, -v1
	v_mul_f32_e32 v1, v82, v51
	v_fmac_f32_e32 v53, v52, v88
	v_mul_f32_e32 v88, v207, v116
	v_fma_f32 v30, v50, v84, -v1
	v_mul_f32_e32 v84, v84, v51
	v_mul_f32_e32 v1, v184, v27
	;; [unrolled: 1-line block ×3, first 2 shown]
	v_fmac_f32_e32 v88, v115, v208
	v_fmac_f32_e32 v84, v50, v82
	v_fma_f32 v82, v26, v187, -v1
	v_mul_f32_e32 v1, v185, v33
	v_fmac_f32_e32 v27, v26, v184
	v_mul_f32_e32 v33, v189, v33
	v_fma_f32 v26, v32, v189, -v1
	v_mul_f32_e32 v1, v96, v23
	v_fmac_f32_e32 v33, v32, v185
	v_mul_f32_e32 v23, v98, v23
	;; [unrolled: 4-line block ×3, first 2 shown]
	v_fma_f32 v22, v46, v81, -v1
	v_mul_f32_e32 v81, v81, v47
	v_mul_f32_e32 v1, v77, v19
	v_fmac_f32_e32 v96, v18, v77
	v_fmac_f32_e32 v81, v46, v80
	v_fma_f32 v80, v18, v186, -v1
	v_mul_f32_e32 v1, v76, v29
	v_mul_f32_e32 v29, v85, v29
	v_fma_f32 v77, v28, v85, -v1
	v_mul_f32_e32 v1, v86, v21
	v_fmac_f32_e32 v29, v28, v76
	v_mul_f32_e32 v21, v89, v21
	v_mul_f32_e32 v76, v78, v11
	v_fma_f32 v28, v20, v89, -v1
	v_mul_f32_e32 v1, v92, v55
	v_fmac_f32_e32 v21, v20, v86
	v_mul_f32_e32 v55, v97, v55
	v_fmac_f32_e32 v76, v10, v72
	v_mul_f32_e32 v89, v209, v7
	v_fma_f32 v20, v54, v97, -v1
	v_mul_f32_e32 v1, v72, v11
	v_fmac_f32_e32 v55, v54, v92
	v_fmac_f32_e32 v89, v6, v210
	v_fma_f32 v54, v10, v78, -v1
	v_mul_f32_e32 v1, v74, v25
	v_mul_f32_e32 v25, v79, v25
	v_mul_f32_e32 v78, v90, v17
	v_fma_f32 v72, v24, v79, -v1
	v_mul_f32_e32 v1, v87, v17
	v_fmac_f32_e32 v25, v24, v74
	v_fmac_f32_e32 v78, v16, v87
	v_sub_f32_e32 v24, v155, v175
	v_fma_f32 v74, v16, v90, -v1
	v_lshlrev_b32_sdwa v1, v147, v38 dst_sel:DWORD dst_unused:UNUSED_PAD src0_sel:DWORD src1_sel:BYTE_0
	v_fma_f32 v38, v52, v93, -v2
	v_mul_f32_e32 v52, v75, v9
	v_mul_f32_e32 v2, v83, v13
	v_sub_f32_e32 v16, v154, v183
	global_load_dwordx2 v[46:47], v1, s[4:5]
	v_mul_f32_e32 v1, v70, v9
	v_fmac_f32_e32 v52, v8, v70
	v_mul_f32_e32 v70, v73, v15
	v_fma_f32 v79, v12, v94, -v2
	v_mul_f32_e32 v2, v101, v57
	v_fma_f32 v75, v8, v75, -v1
	v_mul_f32_e32 v1, v71, v15
	v_fmac_f32_e32 v70, v14, v71
	v_mul_f32_e32 v71, v94, v13
	v_mul_f32_e32 v57, v102, v57
	v_fma_f32 v85, v56, v102, -v2
	v_fma_f32 v73, v14, v73, -v1
	v_mul_f32_e32 v1, v91, v49
	v_fmac_f32_e32 v71, v12, v83
	v_fmac_f32_e32 v57, v56, v101
	v_mul_f32_e32 v56, v104, v61
	v_mul_f32_e32 v2, v105, v59
	v_fma_f32 v83, v48, v95, -v1
	v_mul_f32_e32 v1, v103, v61
	v_mul_f32_e32 v59, v106, v59
	ds_read_b64 v[34:35], v134
	ds_read_b64 v[50:51], v133
	v_fmac_f32_e32 v56, v60, v103
	v_mul_f32_e32 v8, v112, v69
	v_fma_f32 v61, v60, v104, -v1
	v_fma_f32 v60, v58, v106, -v2
	v_fmac_f32_e32 v59, v58, v105
	v_fma_f32 v58, v62, v109, -v3
	ds_read_b64 v[2:3], v132
	ds_read_b64 v[10:11], v130
	;; [unrolled: 1-line block ×3, first 2 shown]
	v_mul_f32_e32 v1, v108, v65
	v_mul_f32_e32 v65, v110, v65
	;; [unrolled: 1-line block ×3, first 2 shown]
	v_sub_f32_e32 v9, v159, v174
	v_mul_f32_e32 v49, v95, v49
	v_fma_f32 v62, v64, v110, -v1
	v_fmac_f32_e32 v65, v64, v108
	v_fma_f32 v64, v68, v111, -v8
	v_fmac_f32_e32 v69, v68, v112
	v_mul_f32_e32 v1, v120, v67
	v_mul_f32_e32 v67, v117, v67
	;; [unrolled: 1-line block ×5, first 2 shown]
	v_fma_f32 v86, v66, v117, -v1
	v_fmac_f32_e32 v67, v66, v120
	v_fma_f32 v66, v4, v205, -v8
	v_fmac_f32_e32 v68, v4, v206
	v_fma_f32 v87, v115, v207, -v5
	s_waitcnt lgkmcnt(2)
	v_sub_f32_e32 v4, v3, v160
	v_sub_f32_e32 v5, v158, v181
	;; [unrolled: 1-line block ×3, first 2 shown]
	v_mul_f32_e32 v1, v210, v7
	s_waitcnt lgkmcnt(1)
	v_sub_f32_e32 v15, v11, v156
	v_fma_f32 v13, v3, 2.0, -v4
	v_add_f32_e32 v7, v4, v5
	v_sub_f32_e32 v12, v8, v9
	v_fma_f32 v90, v6, v209, -v1
	v_fma_f32 v5, v158, 2.0, -v5
	v_sub_f32_e32 v17, v10, v157
	v_mul_f32_e32 v6, v7, v0
	v_mul_f32_e32 v1, v12, v0
	v_fma_f32 v0, v159, 2.0, -v9
	v_fma_f32 v9, v2, 2.0, -v8
	;; [unrolled: 1-line block ×4, first 2 shown]
	v_fmac_f32_e32 v1, v7, v215
	v_sub_f32_e32 v8, v13, v0
	v_fma_f32 v0, v12, v215, -v6
	v_mul_f32_e32 v6, v4, v84
	v_mul_f32_e32 v3, v2, v84
	v_sub_f32_e32 v12, v9, v5
	v_mul_f32_e32 v14, v8, v31
	v_fma_f32 v13, v13, 2.0, -v8
	v_fma_f32 v2, v2, v30, -v6
	v_fmac_f32_e32 v3, v4, v30
	v_mul_f32_e32 v5, v12, v31
	v_fma_f32 v6, v9, 2.0, -v12
	v_fma_f32 v4, v12, v188, -v14
	v_add_f32_e32 v12, v15, v16
	v_sub_f32_e32 v14, v17, v24
	v_mul_f32_e32 v9, v13, v27
	v_mul_f32_e32 v7, v6, v27
	v_fmac_f32_e32 v5, v8, v188
	v_mul_f32_e32 v8, v12, v33
	v_fma_f32 v27, v11, 2.0, -v15
	v_fma_f32 v11, v155, 2.0, -v24
	;; [unrolled: 1-line block ×6, first 2 shown]
	v_fma_f32 v6, v6, v82, -v9
	v_fmac_f32_e32 v7, v13, v82
	v_mul_f32_e32 v9, v14, v33
	v_sub_f32_e32 v24, v27, v11
	v_fma_f32 v8, v14, v26, -v8
	v_mul_f32_e32 v11, v15, v81
	v_mul_f32_e32 v13, v17, v81
	v_sub_f32_e32 v14, v10, v16
	v_mul_f32_e32 v16, v24, v23
	v_fmac_f32_e32 v9, v12, v26
	v_fma_f32 v12, v17, v22, -v11
	v_fmac_f32_e32 v13, v15, v22
	v_mul_f32_e32 v11, v14, v23
	v_fma_f32 v17, v27, 2.0, -v24
	ds_read_b64 v[26:27], v127
	v_fma_f32 v22, v10, 2.0, -v14
	s_waitcnt lgkmcnt(1)
	v_sub_f32_e32 v23, v19, v152
	v_sub_f32_e32 v30, v151, v182
	;; [unrolled: 1-line block ×4, first 2 shown]
	v_fmac_f32_e32 v49, v48, v91
	v_fma_f32 v10, v14, v32, -v16
	v_mul_f32_e32 v14, v17, v96
	v_mul_f32_e32 v15, v22, v96
	v_add_f32_e32 v48, v23, v30
	v_sub_f32_e32 v16, v31, v33
	v_fmac_f32_e32 v11, v24, v32
	v_fma_f32 v14, v22, v80, -v14
	v_fmac_f32_e32 v15, v17, v80
	v_mul_f32_e32 v22, v48, v29
	v_mul_f32_e32 v17, v16, v29
	v_fma_f32 v24, v19, 2.0, -v23
	v_fma_f32 v29, v18, 2.0, -v31
	;; [unrolled: 1-line block ×6, first 2 shown]
	v_fma_f32 v16, v16, v77, -v22
	v_mul_f32_e32 v22, v23, v55
	v_mul_f32_e32 v19, v18, v55
	v_sub_f32_e32 v31, v24, v31
	v_sub_f32_e32 v30, v29, v30
	v_fmac_f32_e32 v17, v48, v77
	v_fma_f32 v18, v18, v20, -v22
	v_fmac_f32_e32 v19, v23, v20
	v_mul_f32_e32 v20, v31, v21
	v_fma_f32 v24, v24, 2.0, -v31
	v_fma_f32 v22, v29, 2.0, -v30
	s_waitcnt lgkmcnt(0)
	v_sub_f32_e32 v29, v27, v148
	v_sub_f32_e32 v32, v123, v179
	;; [unrolled: 1-line block ×4, first 2 shown]
	v_mul_f32_e32 v21, v30, v21
	v_fma_f32 v20, v30, v28, -v20
	v_mul_f32_e32 v30, v24, v76
	v_mul_f32_e32 v23, v22, v76
	v_add_f32_e32 v55, v29, v32
	v_sub_f32_e32 v76, v33, v48
	v_fmac_f32_e32 v21, v31, v28
	v_fma_f32 v22, v22, v54, -v30
	v_fma_f32 v28, v27, 2.0, -v29
	v_fma_f32 v27, v125, 2.0, -v48
	;; [unrolled: 1-line block ×6, first 2 shown]
	v_fmac_f32_e32 v23, v24, v54
	v_mul_f32_e32 v24, v55, v25
	v_mul_f32_e32 v25, v76, v25
	v_sub_f32_e32 v32, v28, v27
	v_mul_f32_e32 v33, v29, v53
	v_mul_f32_e32 v27, v26, v53
	v_sub_f32_e32 v31, v30, v31
	v_fmac_f32_e32 v25, v55, v72
	v_mul_f32_e32 v48, v32, v78
	v_fma_f32 v26, v26, v38, -v33
	v_fmac_f32_e32 v27, v29, v38
	v_fma_f32 v33, v28, 2.0, -v32
	v_fma_f32 v30, v30, 2.0, -v31
	v_sub_f32_e32 v38, v35, v166
	v_sub_f32_e32 v53, v164, v178
	;; [unrolled: 1-line block ×4, first 2 shown]
	v_fma_f32 v24, v76, v72, -v24
	v_mul_f32_e32 v29, v31, v78
	v_fma_f32 v28, v31, v74, -v48
	v_mul_f32_e32 v48, v33, v52
	v_mul_f32_e32 v31, v30, v52
	v_add_f32_e32 v52, v38, v53
	v_sub_f32_e32 v72, v54, v55
	v_fmac_f32_e32 v29, v32, v74
	v_fma_f32 v30, v30, v75, -v48
	v_fmac_f32_e32 v31, v33, v75
	v_mul_f32_e32 v32, v52, v70
	v_mul_f32_e32 v33, v72, v70
	v_fma_f32 v70, v35, 2.0, -v38
	v_fma_f32 v35, v165, 2.0, -v55
	v_fma_f32 v34, v34, 2.0, -v54
	v_fma_f32 v38, v38, 2.0, -v52
	v_fma_f32 v48, v54, 2.0, -v72
	v_fma_f32 v53, v164, 2.0, -v53
	v_sub_f32_e32 v54, v70, v35
	v_fma_f32 v32, v72, v73, -v32
	v_mul_f32_e32 v35, v38, v49
	v_mul_f32_e32 v49, v48, v49
	v_sub_f32_e32 v53, v34, v53
	v_mul_f32_e32 v55, v54, v71
	v_fmac_f32_e32 v33, v52, v73
	v_fma_f32 v48, v48, v83, -v35
	v_fmac_f32_e32 v49, v38, v83
	v_mul_f32_e32 v35, v53, v71
	v_fma_f32 v38, v70, 2.0, -v54
	v_fma_f32 v52, v34, 2.0, -v53
	v_sub_f32_e32 v70, v51, v162
	v_sub_f32_e32 v71, v146, v173
	;; [unrolled: 1-line block ×4, first 2 shown]
	v_fma_f32 v34, v53, v79, -v55
	v_mul_f32_e32 v55, v38, v57
	v_mul_f32_e32 v53, v52, v57
	v_add_f32_e32 v57, v70, v71
	v_sub_f32_e32 v74, v72, v73
	v_fma_f32 v75, v50, 2.0, -v72
	v_fma_f32 v52, v52, v85, -v55
	v_fmac_f32_e32 v53, v38, v85
	v_mul_f32_e32 v38, v57, v56
	v_mul_f32_e32 v55, v74, v56
	v_fma_f32 v56, v51, 2.0, -v70
	v_fma_f32 v70, v70, 2.0, -v57
	;; [unrolled: 1-line block ×5, first 2 shown]
	v_fmac_f32_e32 v35, v54, v79
	v_fma_f32 v54, v74, v61, -v38
	v_mul_f32_e32 v38, v70, v63
	v_mul_f32_e32 v51, v50, v63
	v_sub_f32_e32 v63, v56, v72
	v_sub_f32_e32 v71, v75, v71
	v_fmac_f32_e32 v55, v57, v61
	v_fma_f32 v50, v50, v58, -v38
	v_fmac_f32_e32 v51, v70, v58
	v_mul_f32_e32 v38, v63, v59
	v_fma_f32 v61, v56, 2.0, -v63
	v_fma_f32 v58, v75, 2.0, -v71
	v_sub_f32_e32 v70, v139, v202
	v_sub_f32_e32 v72, v137, v171
	;; [unrolled: 1-line block ×4, first 2 shown]
	v_mul_f32_e32 v57, v71, v59
	v_fma_f32 v56, v71, v60, -v38
	v_mul_f32_e32 v38, v61, v65
	v_mul_f32_e32 v59, v58, v65
	v_add_f32_e32 v65, v70, v72
	v_sub_f32_e32 v71, v73, v74
	v_fmac_f32_e32 v57, v63, v60
	v_fma_f32 v58, v58, v62, -v38
	v_fmac_f32_e32 v59, v61, v62
	v_mul_f32_e32 v38, v65, v69
	v_mul_f32_e32 v61, v71, v69
	v_fma_f32 v69, v139, 2.0, -v70
	v_fma_f32 v75, v138, 2.0, -v73
	;; [unrolled: 1-line block ×5, first 2 shown]
	v_fma_f32 v60, v71, v64, -v38
	v_fma_f32 v38, v73, 2.0, -v71
	v_sub_f32_e32 v71, v69, v62
	v_sub_f32_e32 v72, v75, v63
	v_mul_f32_e32 v62, v70, v68
	v_fmac_f32_e32 v61, v65, v64
	v_mul_f32_e32 v63, v38, v68
	v_mul_f32_e32 v64, v71, v67
	;; [unrolled: 1-line block ×3, first 2 shown]
	v_fma_f32 v62, v38, v66, -v62
	v_fma_f32 v38, v69, 2.0, -v71
	v_fmac_f32_e32 v63, v70, v66
	v_fma_f32 v64, v72, v86, -v64
	v_fmac_f32_e32 v65, v71, v86
	v_fma_f32 v66, v75, 2.0, -v72
	v_sub_f32_e32 v70, v114, v200
	v_sub_f32_e32 v72, v113, v201
	;; [unrolled: 1-line block ×4, first 2 shown]
	v_mul_f32_e32 v76, v211, v192
	v_fma_f32 v74, v114, 2.0, -v70
	v_fma_f32 v75, v113, 2.0, -v72
	v_add_f32_e32 v73, v70, v69
	v_fma_f32 v69, v122, 2.0, -v69
	v_sub_f32_e32 v77, v72, v71
	v_fma_f32 v71, v199, 2.0, -v71
	v_mul_f32_e32 v68, v38, v88
	v_fmac_f32_e32 v76, v191, v212
	v_sub_f32_e32 v80, v75, v69
	v_mul_f32_e32 v79, v73, v89
	v_sub_f32_e32 v81, v74, v71
	v_mul_f32_e32 v67, v66, v88
	v_mul_f32_e32 v69, v77, v89
	;; [unrolled: 1-line block ×3, first 2 shown]
	v_fma_f32 v66, v66, v87, -v68
	v_fma_f32 v68, v77, v90, -v79
	v_mul_f32_e32 v83, v81, v76
	v_fma_f32 v79, v72, 2.0, -v77
	v_fmac_f32_e32 v67, v38, v87
	v_mul_f32_e32 v38, v213, v194
	v_fmac_f32_e32 v69, v73, v90
	v_fma_f32 v70, v70, 2.0, -v73
	v_mad_u64_u32 v[72:73], null, s0, v118, 0
	v_mul_f32_e32 v78, v212, v192
	v_fmac_f32_e32 v38, v193, v214
	v_fma_f32 v86, v75, 2.0, -v80
	v_mul_lo_u32 v87, s8, v45
	v_fma_f32 v82, v191, v211, -v78
	v_mul_f32_e32 v84, v70, v38
	v_mul_f32_e32 v78, v214, v194
	v_fmac_f32_e32 v71, v81, v82
	v_fma_f32 v81, v74, 2.0, -v81
	v_fma_f32 v78, v193, v213, -v78
	v_fma_f32 v45, v79, v78, -v84
	v_mul_lo_u32 v84, s9, v40
	s_waitcnt vmcnt(0)
	v_mul_f32_e32 v76, v46, v196
	v_mul_f32_e32 v77, v47, v196
	v_fmac_f32_e32 v76, v47, v195
	v_fma_f32 v47, v46, v195, -v77
	v_mul_f32_e32 v46, v79, v38
	v_mov_b32_e32 v38, v73
	v_mul_f32_e32 v77, v76, v198
	v_mul_f32_e32 v85, v47, v198
	v_fmac_f32_e32 v46, v70, v78
	v_mad_u64_u32 v[73:74], null, s1, v118, v[38:39]
	v_mul_lo_u32 v38, s9, v119
	v_fmac_f32_e32 v85, v197, v76
	v_mad_u64_u32 v[74:75], null, s8, v119, 0
	v_fma_f32 v47, v197, v47, -v77
	v_mul_lo_u32 v70, s8, v43
	v_mul_f32_e32 v77, v86, v85
	v_mul_f32_e32 v76, v81, v85
	v_lshlrev_b64 v[72:73], 3, v[72:73]
	v_mad_u64_u32 v[78:79], null, s8, v121, 0
	v_fmac_f32_e32 v77, v81, v47
	v_fma_f32 v76, v86, v47, -v76
	v_add3_u32 v75, v75, v87, v38
	v_mul_lo_u32 v47, s9, v121
	s_lshl_b64 s[0:1], s[2:3], 3
	v_and_or_b32 v81, 0x80, v136, v145
	s_add_u32 s0, s10, s0
	v_lshlrev_b64 v[74:75], 3, v[74:75]
	s_addc_u32 s1, s11, s1
	v_add_co_u32 v38, vcc_lo, s0, v72
	v_add_co_ci_u32_e32 v43, vcc_lo, s1, v73, vcc_lo
	v_add3_u32 v79, v79, v70, v47
	v_add_co_u32 v72, vcc_lo, v38, v74
	v_add_co_ci_u32_e32 v73, vcc_lo, v43, v75, vcc_lo
	v_lshlrev_b64 v[74:75], 3, v[78:79]
	v_mad_u64_u32 v[78:79], null, s8, v81, 0
	v_mul_lo_u32 v47, s9, v36
	v_mul_lo_u32 v70, s8, v37
	v_mad_u64_u32 v[36:37], null, s8, v36, 0
	v_add_co_u32 v74, vcc_lo, v38, v74
	v_add_co_ci_u32_e32 v75, vcc_lo, v43, v75, vcc_lo
	global_store_dwordx2 v[72:73], v[76:77], off
	global_store_dwordx2 v[74:75], v[45:46], off
	v_mov_b32_e32 v45, v79
	v_mul_lo_u32 v85, s8, v41
	v_mad_u64_u32 v[40:41], null, s8, v40, 0
	v_or_b32_e32 v76, 32, v81
	v_mad_u64_u32 v[45:46], null, s9, v81, v[45:46]
	v_add3_u32 v37, v37, v70, v47
	v_fma_f32 v70, v80, v82, -v83
	v_mad_u64_u32 v[46:47], null, s8, v76, 0
	v_add3_u32 v41, v41, v85, v84
	v_or_b32_e32 v80, 64, v81
	v_lshlrev_b64 v[36:37], 3, v[36:37]
	v_mov_b32_e32 v79, v45
	v_or_b32_e32 v81, 0x60, v81
	v_lshlrev_b64 v[40:41], 3, v[40:41]
	v_mov_b32_e32 v45, v47
	v_mad_u64_u32 v[72:73], null, s8, v80, 0
	v_add_co_u32 v36, vcc_lo, v38, v36
	v_lshlrev_b64 v[74:75], 3, v[78:79]
	v_add_co_ci_u32_e32 v37, vcc_lo, v43, v37, vcc_lo
	v_mad_u64_u32 v[76:77], null, s9, v76, v[45:46]
	v_add_co_u32 v40, vcc_lo, v38, v40
	v_mad_u64_u32 v[77:78], null, s8, v81, 0
	v_add_co_ci_u32_e32 v41, vcc_lo, v43, v41, vcc_lo
	v_mov_b32_e32 v45, v73
	v_add_co_u32 v73, vcc_lo, v38, v74
	v_add_co_ci_u32_e32 v74, vcc_lo, v43, v75, vcc_lo
	global_store_dwordx2 v[36:37], v[70:71], off
	global_store_dwordx2 v[40:41], v[68:69], off
	;; [unrolled: 1-line block ×3, first 2 shown]
	v_mov_b32_e32 v36, v78
	v_mov_b32_e32 v47, v76
	v_and_or_b32 v76, 0x80, v135, v144
	v_mad_u64_u32 v[79:80], null, s9, v80, v[45:46]
	v_mad_u64_u32 v[36:37], null, s9, v81, v[36:37]
	v_lshlrev_b64 v[40:41], 3, v[46:47]
	v_mad_u64_u32 v[45:46], null, s8, v76, 0
	v_or_b32_e32 v74, 32, v76
	v_mov_b32_e32 v73, v79
	v_mov_b32_e32 v78, v36
	v_add_co_u32 v40, vcc_lo, v38, v40
	v_mov_b32_e32 v36, v46
	v_lshlrev_b64 v[66:67], 3, v[72:73]
	v_lshlrev_b64 v[46:47], 3, v[77:78]
	v_or_b32_e32 v77, 64, v76
	v_mad_u64_u32 v[68:69], null, s8, v74, 0
	v_mad_u64_u32 v[36:37], null, s9, v76, v[36:37]
	;; [unrolled: 1-line block ×3, first 2 shown]
	v_add_co_ci_u32_e32 v41, vcc_lo, v43, v41, vcc_lo
	v_add_co_u32 v66, vcc_lo, v38, v66
	v_add_co_ci_u32_e32 v67, vcc_lo, v43, v67, vcc_lo
	v_mov_b32_e32 v37, v69
	v_add_co_u32 v72, vcc_lo, v38, v46
	v_mov_b32_e32 v46, v36
	v_mov_b32_e32 v36, v71
	v_add_co_ci_u32_e32 v73, vcc_lo, v43, v47, vcc_lo
	v_mad_u64_u32 v[74:75], null, s9, v74, v[37:38]
	global_store_dwordx2 v[40:41], v[62:63], off
	global_store_dwordx2 v[66:67], v[64:65], off
	;; [unrolled: 1-line block ×3, first 2 shown]
	v_or_b32_e32 v64, 0x60, v76
	v_mad_u64_u32 v[36:37], null, s9, v77, v[36:37]
	v_lshlrev_b64 v[40:41], 3, v[45:46]
	v_and_or_b32 v72, 0x80, v131, v143
	v_mad_u64_u32 v[45:46], null, s8, v64, 0
	v_mov_b32_e32 v69, v74
	v_mov_b32_e32 v71, v36
	v_mad_u64_u32 v[62:63], null, s8, v72, 0
	v_lshlrev_b64 v[60:61], 3, v[68:69]
	v_mov_b32_e32 v36, v46
	v_lshlrev_b64 v[46:47], 3, v[70:71]
	v_or_b32_e32 v70, 32, v72
	v_add_co_u32 v40, vcc_lo, v38, v40
	v_mad_u64_u32 v[36:37], null, s9, v64, v[36:37]
	v_mad_u64_u32 v[64:65], null, s8, v70, 0
	v_add_co_ci_u32_e32 v41, vcc_lo, v43, v41, vcc_lo
	v_add_co_u32 v60, vcc_lo, v38, v60
	v_add_co_ci_u32_e32 v61, vcc_lo, v43, v61, vcc_lo
	v_mov_b32_e32 v37, v63
	v_add_co_u32 v66, vcc_lo, v38, v46
	v_mov_b32_e32 v46, v36
	v_mov_b32_e32 v36, v65
	v_add_co_ci_u32_e32 v67, vcc_lo, v43, v47, vcc_lo
	v_mad_u64_u32 v[68:69], null, s9, v72, v[37:38]
	global_store_dwordx2 v[40:41], v[58:59], off
	global_store_dwordx2 v[60:61], v[50:51], off
	;; [unrolled: 1-line block ×3, first 2 shown]
	v_or_b32_e32 v58, 64, v72
	v_mad_u64_u32 v[36:37], null, s9, v70, v[36:37]
	v_lshlrev_b64 v[40:41], 3, v[45:46]
	v_or_b32_e32 v66, 0x60, v72
	v_mad_u64_u32 v[45:46], null, s8, v58, 0
	v_mov_b32_e32 v63, v68
	v_mov_b32_e32 v65, v36
	v_add_co_u32 v40, vcc_lo, v38, v40
	v_lshlrev_b64 v[50:51], 3, v[62:63]
	v_mov_b32_e32 v36, v46
	v_lshlrev_b64 v[46:47], 3, v[64:65]
	v_and_or_b32 v64, 0x80, v128, v142
	v_add_co_ci_u32_e32 v41, vcc_lo, v43, v41, vcc_lo
	v_mad_u64_u32 v[56:57], null, s8, v66, 0
	v_add_co_u32 v50, vcc_lo, v38, v50
	v_mad_u64_u32 v[36:37], null, s9, v58, v[36:37]
	v_mad_u64_u32 v[58:59], null, s8, v64, 0
	v_add_co_ci_u32_e32 v51, vcc_lo, v43, v51, vcc_lo
	v_add_co_u32 v60, vcc_lo, v38, v46
	v_add_co_ci_u32_e32 v61, vcc_lo, v43, v47, vcc_lo
	v_mov_b32_e32 v37, v57
	v_mov_b32_e32 v46, v36
	global_store_dwordx2 v[40:41], v[54:55], off
	global_store_dwordx2 v[50:51], v[52:53], off
	;; [unrolled: 1-line block ×3, first 2 shown]
	v_mov_b32_e32 v36, v59
	v_or_b32_e32 v53, 32, v64
	v_mad_u64_u32 v[62:63], null, s9, v66, v[37:38]
	v_lshlrev_b64 v[40:41], 3, v[45:46]
	v_mad_u64_u32 v[36:37], null, s9, v64, v[36:37]
	v_mad_u64_u32 v[45:46], null, s8, v53, 0
	v_or_b32_e32 v55, 64, v64
	v_mov_b32_e32 v57, v62
	v_add_co_u32 v40, vcc_lo, v38, v40
	v_mov_b32_e32 v59, v36
	v_mad_u64_u32 v[49:50], null, s8, v55, 0
	v_mov_b32_e32 v36, v46
	v_lshlrev_b64 v[47:48], 3, v[56:57]
	v_or_b32_e32 v57, 0x60, v64
	v_lshlrev_b64 v[51:52], 3, v[58:59]
	v_add_co_ci_u32_e32 v41, vcc_lo, v43, v41, vcc_lo
	v_mad_u64_u32 v[36:37], null, s9, v53, v[36:37]
	v_add_co_u32 v47, vcc_lo, v38, v47
	v_mad_u64_u32 v[53:54], null, s8, v57, 0
	v_add_co_ci_u32_e32 v48, vcc_lo, v43, v48, vcc_lo
	v_mov_b32_e32 v37, v50
	v_add_co_u32 v50, vcc_lo, v38, v51
	v_mov_b32_e32 v46, v36
	v_add_co_ci_u32_e32 v51, vcc_lo, v43, v52, vcc_lo
	global_store_dwordx2 v[40:41], v[34:35], off
	global_store_dwordx2 v[47:48], v[32:33], off
	;; [unrolled: 1-line block ×3, first 2 shown]
	v_lshlrev_b64 v[31:32], 3, v[45:46]
	v_mov_b32_e32 v30, v54
	v_and_or_b32 v51, 0x80, v126, v141
	v_mad_u64_u32 v[55:56], null, s9, v55, v[37:38]
	v_mad_u64_u32 v[33:34], null, s9, v57, v[30:31]
	;; [unrolled: 1-line block ×3, first 2 shown]
	v_or_b32_e32 v52, 32, v51
	v_add_co_u32 v30, vcc_lo, v38, v31
	v_mov_b32_e32 v50, v55
	v_add_co_ci_u32_e32 v31, vcc_lo, v43, v32, vcc_lo
	v_mov_b32_e32 v32, v35
	v_mad_u64_u32 v[40:41], null, s8, v52, 0
	v_mov_b32_e32 v54, v33
	v_lshlrev_b64 v[36:37], 3, v[49:50]
	v_mad_u64_u32 v[32:33], null, s9, v51, v[32:33]
	v_lshlrev_b64 v[45:46], 3, v[53:54]
	v_or_b32_e32 v53, 64, v51
	v_mov_b32_e32 v33, v41
	v_add_co_u32 v36, vcc_lo, v38, v36
	v_add_co_ci_u32_e32 v37, vcc_lo, v43, v37, vcc_lo
	v_mad_u64_u32 v[47:48], null, s8, v53, 0
	v_add_co_u32 v45, vcc_lo, v38, v45
	v_mad_u64_u32 v[49:50], null, s9, v52, v[33:34]
	v_mov_b32_e32 v35, v32
	v_add_co_ci_u32_e32 v46, vcc_lo, v43, v46, vcc_lo
	global_store_dwordx2 v[30:31], v[26:27], off
	global_store_dwordx2 v[36:37], v[28:29], off
	;; [unrolled: 1-line block ×3, first 2 shown]
	v_lshlrev_b64 v[25:26], 3, v[34:35]
	v_mov_b32_e32 v24, v48
	v_mov_b32_e32 v41, v49
	v_or_b32_e32 v36, 0x60, v51
	v_or_b32_e32 v45, 32, v44
	v_mad_u64_u32 v[27:28], null, s9, v53, v[24:25]
	v_lshlrev_b64 v[30:31], 3, v[40:41]
	v_mad_u64_u32 v[28:29], null, s8, v36, 0
	v_add_co_u32 v24, vcc_lo, v38, v25
	v_add_co_ci_u32_e32 v25, vcc_lo, v43, v26, vcc_lo
	v_mov_b32_e32 v48, v27
	v_mad_u64_u32 v[26:27], null, s8, v44, 0
	v_mad_u64_u32 v[32:33], null, s8, v45, 0
	v_add_co_u32 v30, vcc_lo, v38, v30
	v_lshlrev_b64 v[34:35], 3, v[47:48]
	v_add_co_ci_u32_e32 v31, vcc_lo, v43, v31, vcc_lo
	v_mad_u64_u32 v[36:37], null, s9, v36, v[29:30]
	v_mad_u64_u32 v[40:41], null, s9, v44, v[27:28]
	v_mov_b32_e32 v27, v33
	v_add_co_u32 v33, vcc_lo, v38, v34
	v_add_co_ci_u32_e32 v34, vcc_lo, v43, v35, vcc_lo
	v_mov_b32_e32 v29, v36
	v_mad_u64_u32 v[35:36], null, s9, v45, v[27:28]
	v_or_b32_e32 v41, 64, v44
	v_mov_b32_e32 v27, v40
	global_store_dwordx2 v[24:25], v[22:23], off
	global_store_dwordx2 v[30:31], v[18:19], off
	global_store_dwordx2 v[33:34], v[20:21], off
	v_lshlrev_b64 v[18:19], 3, v[28:29]
	v_mad_u64_u32 v[36:37], null, s8, v41, 0
	v_mov_b32_e32 v33, v35
	v_lshlrev_b64 v[20:21], 3, v[26:27]
	v_and_or_b32 v27, 0x80, v42, v39
	v_add_co_u32 v18, vcc_lo, v38, v18
	v_lshlrev_b64 v[23:24], 3, v[32:33]
	v_mov_b32_e32 v22, v37
	v_add_co_ci_u32_e32 v19, vcc_lo, v43, v19, vcc_lo
	v_add_co_u32 v20, vcc_lo, v38, v20
	v_mad_u64_u32 v[25:26], null, s9, v41, v[22:23]
	v_add_co_ci_u32_e32 v21, vcc_lo, v43, v21, vcc_lo
	v_or_b32_e32 v26, 0x60, v44
	v_add_co_u32 v22, vcc_lo, v38, v23
	v_add_co_ci_u32_e32 v23, vcc_lo, v43, v24, vcc_lo
	v_mov_b32_e32 v37, v25
	v_mad_u64_u32 v[24:25], null, s8, v26, 0
	global_store_dwordx2 v[18:19], v[16:17], off
	global_store_dwordx2 v[20:21], v[14:15], off
	;; [unrolled: 1-line block ×3, first 2 shown]
	v_or_b32_e32 v22, 32, v27
	v_mad_u64_u32 v[14:15], null, s8, v27, 0
	v_lshlrev_b64 v[12:13], 3, v[36:37]
	v_or_b32_e32 v28, 64, v27
	v_mad_u64_u32 v[17:18], null, s8, v22, 0
	v_mov_b32_e32 v16, v25
	v_or_b32_e32 v29, 0x60, v27
	v_add_co_u32 v12, vcc_lo, v38, v12
	v_add_co_ci_u32_e32 v13, vcc_lo, v43, v13, vcc_lo
	v_mad_u64_u32 v[19:20], null, s9, v26, v[16:17]
	v_mad_u64_u32 v[15:16], null, s9, v27, v[15:16]
	v_mov_b32_e32 v16, v18
	v_mad_u64_u32 v[20:21], null, s8, v28, 0
	v_mad_u64_u32 v[26:27], null, s8, v29, 0
	v_mov_b32_e32 v25, v19
	v_mad_u64_u32 v[22:23], null, s9, v22, v[16:17]
	global_store_dwordx2 v[12:13], v[10:11], off
	v_mov_b32_e32 v10, v21
	v_lshlrev_b64 v[11:12], 3, v[24:25]
	v_lshlrev_b64 v[13:14], 3, v[14:15]
	v_mov_b32_e32 v18, v22
	v_mad_u64_u32 v[21:22], null, s9, v28, v[10:11]
	v_mov_b32_e32 v10, v27
	v_add_co_u32 v11, vcc_lo, v38, v11
	v_add_co_ci_u32_e32 v12, vcc_lo, v43, v12, vcc_lo
	v_add_co_u32 v13, vcc_lo, v38, v13
	v_mad_u64_u32 v[15:16], null, s9, v29, v[10:11]
	v_lshlrev_b64 v[16:17], 3, v[17:18]
	v_lshlrev_b64 v[18:19], 3, v[20:21]
	v_add_co_ci_u32_e32 v14, vcc_lo, v43, v14, vcc_lo
	v_mov_b32_e32 v27, v15
	v_add_co_u32 v15, vcc_lo, v38, v16
	v_add_co_ci_u32_e32 v16, vcc_lo, v43, v17, vcc_lo
	v_lshlrev_b64 v[20:21], 3, v[26:27]
	v_add_co_u32 v17, vcc_lo, v38, v18
	v_add_co_ci_u32_e32 v18, vcc_lo, v43, v19, vcc_lo
	v_add_co_u32 v19, vcc_lo, v38, v20
	v_add_co_ci_u32_e32 v20, vcc_lo, v43, v21, vcc_lo
	global_store_dwordx2 v[11:12], v[8:9], off
	global_store_dwordx2 v[13:14], v[6:7], off
	;; [unrolled: 1-line block ×5, first 2 shown]
.LBB0_12:
	s_endpgm
	.section	.rodata,"a",@progbits
	.p2align	6, 0x0
	.amdhsa_kernel fft_rtc_fwd_len128_factors_2_4_4_4_wgs_128_tpt_4_dim2_sp_ip_CI_sbcc_twdbase8_3step_dirReg
		.amdhsa_group_segment_fixed_size 0
		.amdhsa_private_segment_fixed_size 0
		.amdhsa_kernarg_size 88
		.amdhsa_user_sgpr_count 6
		.amdhsa_user_sgpr_private_segment_buffer 1
		.amdhsa_user_sgpr_dispatch_ptr 0
		.amdhsa_user_sgpr_queue_ptr 0
		.amdhsa_user_sgpr_kernarg_segment_ptr 1
		.amdhsa_user_sgpr_dispatch_id 0
		.amdhsa_user_sgpr_flat_scratch_init 0
		.amdhsa_user_sgpr_private_segment_size 0
		.amdhsa_wavefront_size32 1
		.amdhsa_uses_dynamic_stack 0
		.amdhsa_system_sgpr_private_segment_wavefront_offset 0
		.amdhsa_system_sgpr_workgroup_id_x 1
		.amdhsa_system_sgpr_workgroup_id_y 0
		.amdhsa_system_sgpr_workgroup_id_z 0
		.amdhsa_system_sgpr_workgroup_info 0
		.amdhsa_system_vgpr_workitem_id 0
		.amdhsa_next_free_vgpr 216
		.amdhsa_next_free_sgpr 22
		.amdhsa_reserve_vcc 1
		.amdhsa_reserve_flat_scratch 0
		.amdhsa_float_round_mode_32 0
		.amdhsa_float_round_mode_16_64 0
		.amdhsa_float_denorm_mode_32 3
		.amdhsa_float_denorm_mode_16_64 3
		.amdhsa_dx10_clamp 1
		.amdhsa_ieee_mode 1
		.amdhsa_fp16_overflow 0
		.amdhsa_workgroup_processor_mode 1
		.amdhsa_memory_ordered 1
		.amdhsa_forward_progress 0
		.amdhsa_shared_vgpr_count 0
		.amdhsa_exception_fp_ieee_invalid_op 0
		.amdhsa_exception_fp_denorm_src 0
		.amdhsa_exception_fp_ieee_div_zero 0
		.amdhsa_exception_fp_ieee_overflow 0
		.amdhsa_exception_fp_ieee_underflow 0
		.amdhsa_exception_fp_ieee_inexact 0
		.amdhsa_exception_int_div_zero 0
	.end_amdhsa_kernel
	.text
.Lfunc_end0:
	.size	fft_rtc_fwd_len128_factors_2_4_4_4_wgs_128_tpt_4_dim2_sp_ip_CI_sbcc_twdbase8_3step_dirReg, .Lfunc_end0-fft_rtc_fwd_len128_factors_2_4_4_4_wgs_128_tpt_4_dim2_sp_ip_CI_sbcc_twdbase8_3step_dirReg
                                        ; -- End function
	.section	.AMDGPU.csdata,"",@progbits
; Kernel info:
; codeLenInByte = 17372
; NumSgprs: 24
; NumVgprs: 216
; ScratchSize: 0
; MemoryBound: 0
; FloatMode: 240
; IeeeMode: 1
; LDSByteSize: 0 bytes/workgroup (compile time only)
; SGPRBlocks: 2
; VGPRBlocks: 26
; NumSGPRsForWavesPerEU: 24
; NumVGPRsForWavesPerEU: 216
; Occupancy: 4
; WaveLimiterHint : 1
; COMPUTE_PGM_RSRC2:SCRATCH_EN: 0
; COMPUTE_PGM_RSRC2:USER_SGPR: 6
; COMPUTE_PGM_RSRC2:TRAP_HANDLER: 0
; COMPUTE_PGM_RSRC2:TGID_X_EN: 1
; COMPUTE_PGM_RSRC2:TGID_Y_EN: 0
; COMPUTE_PGM_RSRC2:TGID_Z_EN: 0
; COMPUTE_PGM_RSRC2:TIDIG_COMP_CNT: 0
	.text
	.p2alignl 6, 3214868480
	.fill 48, 4, 3214868480
	.type	__hip_cuid_307470cf89e363a1,@object ; @__hip_cuid_307470cf89e363a1
	.section	.bss,"aw",@nobits
	.globl	__hip_cuid_307470cf89e363a1
__hip_cuid_307470cf89e363a1:
	.byte	0                               ; 0x0
	.size	__hip_cuid_307470cf89e363a1, 1

	.ident	"AMD clang version 19.0.0git (https://github.com/RadeonOpenCompute/llvm-project roc-6.4.0 25133 c7fe45cf4b819c5991fe208aaa96edf142730f1d)"
	.section	".note.GNU-stack","",@progbits
	.addrsig
	.addrsig_sym __hip_cuid_307470cf89e363a1
	.amdgpu_metadata
---
amdhsa.kernels:
  - .args:
      - .actual_access:  read_only
        .address_space:  global
        .offset:         0
        .size:           8
        .value_kind:     global_buffer
      - .address_space:  global
        .offset:         8
        .size:           8
        .value_kind:     global_buffer
      - .actual_access:  read_only
        .address_space:  global
        .offset:         16
        .size:           8
        .value_kind:     global_buffer
      - .actual_access:  read_only
        .address_space:  global
        .offset:         24
        .size:           8
        .value_kind:     global_buffer
      - .offset:         32
        .size:           8
        .value_kind:     by_value
      - .actual_access:  read_only
        .address_space:  global
        .offset:         40
        .size:           8
        .value_kind:     global_buffer
      - .actual_access:  read_only
        .address_space:  global
        .offset:         48
        .size:           8
        .value_kind:     global_buffer
      - .offset:         56
        .size:           4
        .value_kind:     by_value
      - .actual_access:  read_only
        .address_space:  global
        .offset:         64
        .size:           8
        .value_kind:     global_buffer
      - .actual_access:  read_only
        .address_space:  global
        .offset:         72
        .size:           8
        .value_kind:     global_buffer
      - .address_space:  global
        .offset:         80
        .size:           8
        .value_kind:     global_buffer
    .group_segment_fixed_size: 0
    .kernarg_segment_align: 8
    .kernarg_segment_size: 88
    .language:       OpenCL C
    .language_version:
      - 2
      - 0
    .max_flat_workgroup_size: 128
    .name:           fft_rtc_fwd_len128_factors_2_4_4_4_wgs_128_tpt_4_dim2_sp_ip_CI_sbcc_twdbase8_3step_dirReg
    .private_segment_fixed_size: 0
    .sgpr_count:     24
    .sgpr_spill_count: 0
    .symbol:         fft_rtc_fwd_len128_factors_2_4_4_4_wgs_128_tpt_4_dim2_sp_ip_CI_sbcc_twdbase8_3step_dirReg.kd
    .uniform_work_group_size: 1
    .uses_dynamic_stack: false
    .vgpr_count:     216
    .vgpr_spill_count: 0
    .wavefront_size: 32
    .workgroup_processor_mode: 1
amdhsa.target:   amdgcn-amd-amdhsa--gfx1030
amdhsa.version:
  - 1
  - 2
...

	.end_amdgpu_metadata
